;; amdgpu-corpus repo=ROCm/rocFFT kind=compiled arch=gfx1030 opt=O3
	.text
	.amdgcn_target "amdgcn-amd-amdhsa--gfx1030"
	.amdhsa_code_object_version 6
	.protected	bluestein_single_fwd_len3200_dim1_sp_op_CI_CI ; -- Begin function bluestein_single_fwd_len3200_dim1_sp_op_CI_CI
	.globl	bluestein_single_fwd_len3200_dim1_sp_op_CI_CI
	.p2align	8
	.type	bluestein_single_fwd_len3200_dim1_sp_op_CI_CI,@function
bluestein_single_fwd_len3200_dim1_sp_op_CI_CI: ; @bluestein_single_fwd_len3200_dim1_sp_op_CI_CI
; %bb.0:
	s_load_dwordx4 s[12:15], s[4:5], 0x28
	v_mul_u32_u24_e32 v1, 0x19a, v0
	v_mov_b32_e32 v2, 0
	s_mov_b32 s0, exec_lo
	v_lshrrev_b32_e32 v3, 16, v1
	v_add_nc_u32_e32 v1, s6, v3
	s_waitcnt lgkmcnt(0)
	v_cmpx_gt_u64_e64 s[12:13], v[1:2]
	s_cbranch_execz .LBB0_2
; %bb.1:
	s_clause 0x2
	s_load_dwordx4 s[8:11], s[4:5], 0x0
	s_load_dwordx4 s[16:19], s[4:5], 0x18
	s_load_dwordx2 s[12:13], s[4:5], 0x38
	v_mul_lo_u16 v2, 0xa0, v3
	v_mov_b32_e32 v81, 3
	v_sub_nc_u16 v85, v0, v2
	v_and_b32_e32 v216, 0xffff, v85
	v_lshlrev_b32_e32 v217, 3, v216
	v_or_b32_e32 v218, 0x500, v216
	v_or_b32_e32 v219, 0xa00, v216
	s_waitcnt lgkmcnt(0)
	s_load_dwordx4 s[0:3], s[18:19], 0x0
	s_load_dwordx4 s[4:7], s[16:17], 0x0
	global_load_dwordx2 v[158:159], v217, s[8:9]
	v_lshlrev_b32_e32 v84, 3, v218
	v_lshlrev_b32_e32 v86, 3, v219
	v_add_nc_u32_e32 v227, 0x2800, v217
	v_add_nc_u32_e32 v223, 0x3c00, v217
	;; [unrolled: 1-line block ×3, first 2 shown]
	s_clause 0x1
	global_load_dwordx2 v[166:167], v84, s[8:9]
	global_load_dwordx2 v[170:171], v86, s[8:9]
	v_add_nc_u32_e32 v221, 0x5000, v217
	v_add_nc_u32_e32 v225, 0x3000, v217
	;; [unrolled: 1-line block ×6, first 2 shown]
	v_add_co_u32 v80, null, 0xa0, v216
	v_add_co_u32 v87, null, 0x140, v216
	s_waitcnt lgkmcnt(0)
	v_mad_u64_u32 v[146:147], null, s2, v1, 0
	s_add_u32 s2, s8, 0x6400
	v_add_nc_u32_e32 v233, 0x4000, v217
	v_add_nc_u32_e32 v245, 0x3400, v217
	;; [unrolled: 1-line block ×3, first 2 shown]
	v_mov_b32_e32 v0, v147
	v_mad_u64_u32 v[2:3], null, s3, v1, v[0:1]
	s_addc_u32 s3, s9, 0
	v_mov_b32_e32 v147, v2
	v_mad_u64_u32 v[2:3], null, s6, v1, 0
	v_add_co_u32 v12, s6, s8, v217
	v_add_co_ci_u32_e64 v13, null, s9, 0, s6
	s_mul_i32 s6, s5, 0xa00
	v_mov_b32_e32 v0, v3
	v_mad_u64_u32 v[0:1], null, s7, v1, v[0:1]
	s_mul_hi_u32 s7, s4, 0xa00
	s_add_i32 s6, s7, s6
	s_mul_i32 s7, s4, 0xa00
	v_mov_b32_e32 v3, v0
	v_mad_u64_u32 v[0:1], null, s4, v216, 0
	v_mad_u64_u32 v[4:5], null, s5, v216, v[1:2]
	v_lshlrev_b64 v[2:3], 3, v[2:3]
	v_add_co_u32 v18, vcc_lo, s14, v2
	v_mov_b32_e32 v1, v4
	v_add_co_ci_u32_e32 v19, vcc_lo, s15, v3, vcc_lo
	s_mul_i32 s14, s5, 0x1400
	v_lshlrev_b64 v[0:1], 3, v[0:1]
	v_add_co_u32 v0, vcc_lo, v18, v0
	v_add_co_ci_u32_e32 v1, vcc_lo, v19, v1, vcc_lo
	global_load_dwordx2 v[2:3], v[0:1], off
	s_waitcnt vmcnt(0)
	v_mul_f32_e32 v8, v3, v159
	v_fmac_f32_e32 v8, v2, v158
	v_mul_f32_e32 v2, v2, v159
	v_fma_f32 v9, v3, v158, -v2
	v_add_co_u32 v2, vcc_lo, v0, s7
	v_add_co_ci_u32_e32 v3, vcc_lo, s6, v1, vcc_lo
	v_add_co_u32 v0, vcc_lo, 0x800, v12
	v_add_co_ci_u32_e32 v1, vcc_lo, 0, v13, vcc_lo
	global_load_dwordx2 v[4:5], v[2:3], off
	v_add_co_u32 v2, vcc_lo, v2, s7
	global_load_dwordx2 v[156:157], v[0:1], off offset:512
	v_add_co_ci_u32_e32 v3, vcc_lo, s6, v3, vcc_lo
	s_waitcnt vmcnt(0)
	v_mul_f32_e32 v6, v5, v157
	v_fmac_f32_e32 v6, v4, v156
	v_mul_f32_e32 v4, v4, v157
	v_fma_f32 v7, v5, v156, -v4
	global_load_dwordx2 v[4:5], v[2:3], off
	ds_write_b64 v217, v[6:7] offset:2560
	v_add_co_u32 v6, vcc_lo, 0x1000, v12
	v_add_co_ci_u32_e32 v7, vcc_lo, 0, v13, vcc_lo
	global_load_dwordx2 v[154:155], v[6:7], off offset:1024
	s_waitcnt vmcnt(0)
	v_mul_f32_e32 v6, v5, v155
	v_fmac_f32_e32 v6, v4, v154
	v_mul_f32_e32 v4, v4, v155
	v_fma_f32 v7, v5, v154, -v4
	v_add_co_u32 v4, vcc_lo, v2, s7
	v_add_co_ci_u32_e32 v5, vcc_lo, s6, v3, vcc_lo
	v_add_co_u32 v2, vcc_lo, 0x1800, v12
	v_add_co_ci_u32_e32 v3, vcc_lo, 0, v13, vcc_lo
	ds_write_b64 v217, v[6:7] offset:5120
	global_load_dwordx2 v[6:7], v[4:5], off
	global_load_dwordx2 v[152:153], v[2:3], off offset:1536
	s_waitcnt vmcnt(0)
	v_mul_f32_e32 v10, v7, v153
	v_fmac_f32_e32 v10, v6, v152
	v_mul_f32_e32 v6, v6, v153
	v_fma_f32 v11, v7, v152, -v6
	v_mad_u64_u32 v[6:7], null, s4, v218, 0
	ds_write_b64 v217, v[10:11] offset:7680
	v_mad_u64_u32 v[10:11], null, s5, v218, v[7:8]
	v_mov_b32_e32 v7, v10
	v_lshlrev_b64 v[6:7], 3, v[6:7]
	v_add_co_u32 v6, vcc_lo, v18, v6
	v_add_co_ci_u32_e32 v7, vcc_lo, v19, v7, vcc_lo
	global_load_dwordx2 v[6:7], v[6:7], off
	s_waitcnt vmcnt(0)
	v_mul_f32_e32 v10, v7, v167
	v_fmac_f32_e32 v10, v6, v166
	v_mul_f32_e32 v6, v6, v167
	v_fma_f32 v11, v7, v166, -v6
	v_mad_u64_u32 v[6:7], null, 0x1400, s4, v[4:5]
	v_add_co_u32 v4, vcc_lo, 0x3000, v12
	v_add_co_ci_u32_e32 v5, vcc_lo, 0, v13, vcc_lo
	ds_write_b64 v217, v[10:11] offset:10240
	v_add_nc_u32_e32 v7, s14, v7
	global_load_dwordx2 v[164:165], v[4:5], off offset:512
	global_load_dwordx2 v[10:11], v[6:7], off
	v_add_co_u32 v6, vcc_lo, v6, s7
	v_add_co_ci_u32_e32 v7, vcc_lo, s6, v7, vcc_lo
	s_waitcnt vmcnt(0)
	v_mul_f32_e32 v14, v11, v165
	v_fmac_f32_e32 v14, v10, v164
	v_mul_f32_e32 v10, v10, v165
	v_fma_f32 v15, v11, v164, -v10
	global_load_dwordx2 v[10:11], v[6:7], off
	ds_write_b64 v217, v[14:15] offset:12800
	v_add_co_u32 v14, vcc_lo, 0x3800, v12
	v_add_co_ci_u32_e32 v15, vcc_lo, 0, v13, vcc_lo
	global_load_dwordx2 v[162:163], v[14:15], off offset:1024
	s_waitcnt vmcnt(0)
	v_mul_f32_e32 v14, v11, v163
	v_fmac_f32_e32 v14, v10, v162
	v_mul_f32_e32 v10, v10, v163
	v_fma_f32 v15, v11, v162, -v10
	v_add_co_u32 v10, vcc_lo, v6, s7
	v_add_co_ci_u32_e32 v11, vcc_lo, s6, v7, vcc_lo
	v_add_co_u32 v6, vcc_lo, 0x4000, v12
	v_add_co_ci_u32_e32 v7, vcc_lo, 0, v13, vcc_lo
	ds_write_b64 v217, v[14:15] offset:15360
	global_load_dwordx2 v[14:15], v[10:11], off
	global_load_dwordx2 v[160:161], v[6:7], off offset:1536
	s_waitcnt vmcnt(0)
	v_mul_f32_e32 v16, v15, v161
	v_fmac_f32_e32 v16, v14, v160
	v_mul_f32_e32 v14, v14, v161
	v_fma_f32 v17, v15, v160, -v14
	v_mad_u64_u32 v[14:15], null, s4, v219, 0
	ds_write_b64 v217, v[16:17] offset:17920
	v_mad_u64_u32 v[15:16], null, s5, v219, v[15:16]
	s_mulk_i32 s5, 0xab00
	v_lshlrev_b64 v[14:15], 3, v[14:15]
	v_add_co_u32 v14, vcc_lo, v18, v14
	v_add_co_ci_u32_e32 v15, vcc_lo, v19, v15, vcc_lo
	global_load_dwordx2 v[14:15], v[14:15], off
	s_waitcnt vmcnt(0)
	v_mul_f32_e32 v16, v15, v171
	v_fmac_f32_e32 v16, v14, v170
	v_mul_f32_e32 v14, v14, v171
	v_fma_f32 v17, v15, v170, -v14
	v_mad_u64_u32 v[14:15], null, 0x1400, s4, v[10:11]
	v_add_co_u32 v10, vcc_lo, 0x5800, v12
	v_add_co_ci_u32_e32 v11, vcc_lo, 0, v13, vcc_lo
	ds_write_b64 v217, v[16:17] offset:20480
	v_add_nc_u32_e32 v15, s14, v15
	global_load_dwordx2 v[168:169], v[10:11], off offset:512
	global_load_dwordx2 v[16:17], v[14:15], off
	v_mad_u64_u32 v[14:15], null, 0xffffab00, s4, v[14:15]
	s_sub_i32 s4, s5, s4
	s_mul_hi_u32 s5, s0, 0xa00
	v_add_nc_u32_e32 v15, s4, v15
	s_waitcnt vmcnt(0)
	v_mul_f32_e32 v18, v17, v169
	v_fmac_f32_e32 v18, v16, v168
	v_mul_f32_e32 v16, v16, v169
	v_fma_f32 v19, v17, v168, -v16
	ds_write_b64 v217, v[18:19] offset:23040
	global_load_dwordx2 v[16:17], v[14:15], off
	global_load_dwordx2 v[148:149], v217, s[8:9] offset:1280
	s_waitcnt vmcnt(0)
	v_mul_f32_e32 v18, v17, v149
	v_fmac_f32_e32 v18, v16, v148
	v_mul_f32_e32 v16, v16, v149
	v_fma_f32 v19, v17, v148, -v16
	ds_write2_b64 v217, v[8:9], v[18:19] offset1:160
	v_add_co_u32 v8, vcc_lo, v14, s7
	v_add_co_ci_u32_e32 v9, vcc_lo, s6, v15, vcc_lo
	global_load_dwordx2 v[14:15], v[8:9], off
	global_load_dwordx2 v[150:151], v[0:1], off offset:1792
	s_waitcnt vmcnt(0)
	v_mul_f32_e32 v0, v15, v151
	v_mul_f32_e32 v1, v14, v151
	v_fmac_f32_e32 v0, v14, v150
	v_fma_f32 v1, v15, v150, -v1
	ds_write_b64 v217, v[0:1] offset:3840
	v_add_co_u32 v0, vcc_lo, v8, s7
	v_add_co_ci_u32_e32 v1, vcc_lo, s6, v9, vcc_lo
	global_load_dwordx2 v[8:9], v[0:1], off
	global_load_dwordx2 v[144:145], v[2:3], off offset:256
	v_add_co_u32 v0, vcc_lo, v0, s7
	v_add_co_ci_u32_e32 v1, vcc_lo, s6, v1, vcc_lo
	s_waitcnt vmcnt(0)
	v_mul_f32_e32 v2, v9, v145
	v_mul_f32_e32 v3, v8, v145
	v_fmac_f32_e32 v2, v8, v144
	v_add_co_u32 v8, vcc_lo, 0x2000, v12
	v_fma_f32 v3, v9, v144, -v3
	v_add_co_ci_u32_e32 v9, vcc_lo, 0, v13, vcc_lo
	ds_write_b64 v217, v[2:3] offset:6400
	global_load_dwordx2 v[2:3], v[0:1], off
	global_load_dwordx2 v[140:141], v[8:9], off offset:768
	v_add_co_u32 v0, vcc_lo, v0, s7
	v_add_co_ci_u32_e32 v1, vcc_lo, s6, v1, vcc_lo
	s_waitcnt vmcnt(0)
	v_mul_f32_e32 v8, v3, v141
	v_fmac_f32_e32 v8, v2, v140
	v_mul_f32_e32 v2, v2, v141
	v_fma_f32 v9, v3, v140, -v2
	global_load_dwordx2 v[2:3], v[0:1], off
	ds_write_b64 v217, v[8:9] offset:8960
	v_add_co_u32 v8, vcc_lo, 0x2800, v12
	v_add_co_ci_u32_e32 v9, vcc_lo, 0, v13, vcc_lo
	v_add_co_u32 v0, vcc_lo, v0, s7
	v_add_co_ci_u32_e32 v1, vcc_lo, s6, v1, vcc_lo
	global_load_dwordx2 v[136:137], v[8:9], off offset:1280
	s_waitcnt vmcnt(0)
	v_mul_f32_e32 v8, v3, v137
	v_fmac_f32_e32 v8, v2, v136
	v_mul_f32_e32 v2, v2, v137
	v_fma_f32 v9, v3, v136, -v2
	ds_write_b64 v217, v[8:9] offset:11520
	global_load_dwordx2 v[2:3], v[0:1], off
	global_load_dwordx2 v[142:143], v[4:5], off offset:1792
	v_add_co_u32 v0, vcc_lo, v0, s7
	v_add_co_ci_u32_e32 v1, vcc_lo, s6, v1, vcc_lo
	s_waitcnt vmcnt(0)
	v_mul_f32_e32 v4, v3, v143
	v_fmac_f32_e32 v4, v2, v142
	v_mul_f32_e32 v2, v2, v143
	v_fma_f32 v5, v3, v142, -v2
	ds_write_b64 v217, v[4:5] offset:14080
	global_load_dwordx2 v[2:3], v[0:1], off
	global_load_dwordx2 v[138:139], v[6:7], off offset:256
	v_add_co_u32 v0, vcc_lo, v0, s7
	v_add_co_ci_u32_e32 v1, vcc_lo, s6, v1, vcc_lo
	s_waitcnt vmcnt(0)
	v_mul_f32_e32 v4, v3, v139
	v_fmac_f32_e32 v4, v2, v138
	v_mul_f32_e32 v2, v2, v139
	v_fma_f32 v5, v3, v138, -v2
	global_load_dwordx2 v[2:3], v[0:1], off
	ds_write_b64 v217, v[4:5] offset:16640
	v_add_co_u32 v4, vcc_lo, 0x4800, v12
	v_add_co_ci_u32_e32 v5, vcc_lo, 0, v13, vcc_lo
	v_add_co_u32 v0, vcc_lo, v0, s7
	v_add_co_ci_u32_e32 v1, vcc_lo, s6, v1, vcc_lo
	global_load_dwordx2 v[132:133], v[4:5], off offset:768
	s_waitcnt vmcnt(0)
	v_mul_f32_e32 v4, v3, v133
	v_fmac_f32_e32 v4, v2, v132
	v_mul_f32_e32 v2, v2, v133
	v_fma_f32 v5, v3, v132, -v2
	global_load_dwordx2 v[2:3], v[0:1], off
	ds_write_b64 v217, v[4:5] offset:19200
	v_add_co_u32 v4, vcc_lo, 0x5000, v12
	v_add_co_ci_u32_e32 v5, vcc_lo, 0, v13, vcc_lo
	v_add_co_u32 v0, vcc_lo, v0, s7
	v_add_co_ci_u32_e32 v1, vcc_lo, s6, v1, vcc_lo
	global_load_dwordx2 v[130:131], v[4:5], off offset:1280
	v_cmp_gt_u16_e32 vcc_lo, 0x64, v85
	s_mul_i32 s6, s1, 0x1400
	s_waitcnt vmcnt(0)
	v_mul_f32_e32 v4, v3, v131
	v_fmac_f32_e32 v4, v2, v130
	v_mul_f32_e32 v2, v2, v131
	v_fma_f32 v5, v3, v130, -v2
	ds_write_b64 v217, v[4:5] offset:21760
	global_load_dwordx2 v[0:1], v[0:1], off
	global_load_dwordx2 v[134:135], v[10:11], off offset:1792
	s_waitcnt vmcnt(0)
	v_mul_f32_e32 v2, v1, v135
	v_fmac_f32_e32 v2, v0, v134
	v_mul_f32_e32 v0, v0, v135
	v_fma_f32 v3, v1, v134, -v0
	ds_write_b64 v217, v[2:3] offset:24320
	s_waitcnt lgkmcnt(0)
	s_barrier
	buffer_gl0_inv
	ds_read2_b64 v[50:53], v227 offset1:160
	ds_read2_b64 v[38:41], v223 offset1:160
	;; [unrolled: 1-line block ×5, first 2 shown]
	ds_read2_b64 v[32:35], v225 offset0:64 offset1:224
	ds_read2_b64 v[18:21], v222 offset0:64 offset1:224
	;; [unrolled: 1-line block ×5, first 2 shown]
	s_waitcnt lgkmcnt(0)
	s_barrier
	buffer_gl0_inv
	v_add_f32_e32 v9, v50, v38
	v_sub_f32_e32 v12, v51, v39
	v_sub_f32_e32 v13, v46, v50
	;; [unrolled: 1-line block ×4, first 2 shown]
	v_fma_f32 v9, -0.5, v9, v0
	v_add_f32_e32 v8, v0, v46
	v_sub_f32_e32 v16, v33, v19
	v_sub_f32_e32 v26, v28, v32
	v_add_f32_e32 v13, v13, v14
	v_fmamk_f32 v11, v10, 0x3f737871, v9
	v_fmac_f32_e32 v9, 0xbf737871, v10
	v_add_f32_e32 v8, v8, v50
	v_sub_f32_e32 v14, v38, v42
	v_sub_f32_e32 v27, v22, v18
	v_fmac_f32_e32 v11, 0x3f167918, v12
	v_fmac_f32_e32 v9, 0xbf167918, v12
	v_add_f32_e32 v8, v8, v38
	v_sub_f32_e32 v36, v18, v22
	v_add_f32_e32 v26, v26, v27
	v_fmac_f32_e32 v11, 0x3e9e377a, v13
	v_fmac_f32_e32 v9, 0x3e9e377a, v13
	v_add_f32_e32 v13, v46, v42
	v_add_f32_e32 v8, v8, v42
	v_fma_f32 v0, -0.5, v13, v0
	v_sub_f32_e32 v13, v50, v46
	v_fmamk_f32 v15, v12, 0xbf737871, v0
	v_fmac_f32_e32 v0, 0x3f737871, v12
	v_add_f32_e32 v13, v13, v14
	v_sub_f32_e32 v12, v50, v38
	v_sub_f32_e32 v14, v43, v39
	v_fmac_f32_e32 v15, 0x3f167918, v10
	v_fmac_f32_e32 v0, 0xbf167918, v10
	v_add_f32_e32 v10, v1, v47
	v_fmac_f32_e32 v15, 0x3e9e377a, v13
	v_fmac_f32_e32 v0, 0x3e9e377a, v13
	v_add_f32_e32 v10, v10, v51
	v_sub_f32_e32 v13, v47, v51
	v_add_f32_e32 v10, v10, v39
	v_add_f32_e32 v13, v13, v14
	v_sub_f32_e32 v14, v39, v43
	v_add_f32_e32 v17, v10, v43
	v_add_f32_e32 v10, v51, v39
	v_fma_f32 v54, -0.5, v10, v1
	v_sub_f32_e32 v10, v46, v42
	v_fmamk_f32 v42, v10, 0xbf737871, v54
	v_fmac_f32_e32 v54, 0x3f737871, v10
	v_fmac_f32_e32 v42, 0xbf167918, v12
	;; [unrolled: 1-line block ×5, first 2 shown]
	v_add_f32_e32 v13, v47, v43
	v_fma_f32 v1, -0.5, v13, v1
	v_sub_f32_e32 v13, v51, v47
	v_fmamk_f32 v46, v12, 0x3f737871, v1
	v_fmac_f32_e32 v1, 0xbf737871, v12
	v_add_f32_e32 v13, v13, v14
	v_add_f32_e32 v12, v32, v18
	v_fmac_f32_e32 v46, 0xbf167918, v10
	v_fmac_f32_e32 v1, 0x3f167918, v10
	v_add_f32_e32 v10, v4, v28
	v_fmac_f32_e32 v46, 0x3e9e377a, v13
	v_fmac_f32_e32 v1, 0x3e9e377a, v13
	v_fma_f32 v13, -0.5, v12, v4
	v_sub_f32_e32 v12, v29, v23
	v_add_f32_e32 v10, v10, v32
	v_fmamk_f32 v14, v12, 0x3f737871, v13
	v_fmac_f32_e32 v13, 0xbf737871, v12
	v_add_f32_e32 v10, v10, v18
	v_sub_f32_e32 v18, v32, v18
	v_fmac_f32_e32 v14, 0x3f167918, v16
	v_fmac_f32_e32 v13, 0xbf167918, v16
	v_add_f32_e32 v10, v10, v22
	v_fmac_f32_e32 v14, 0x3e9e377a, v26
	v_fmac_f32_e32 v13, 0x3e9e377a, v26
	v_add_f32_e32 v26, v28, v22
	v_mul_f32_e32 v47, 0xbf167918, v14
	v_fma_f32 v4, -0.5, v26, v4
	v_sub_f32_e32 v26, v32, v28
	v_fmamk_f32 v27, v16, 0xbf737871, v4
	v_fmac_f32_e32 v4, 0x3f737871, v16
	v_add_f32_e32 v26, v26, v36
	v_add_f32_e32 v36, v8, v10
	v_fmac_f32_e32 v27, 0x3f167918, v12
	v_fmac_f32_e32 v4, 0xbf167918, v12
	v_add_f32_e32 v12, v5, v29
	v_fmac_f32_e32 v27, 0x3e9e377a, v26
	v_fmac_f32_e32 v4, 0x3e9e377a, v26
	v_add_f32_e32 v12, v12, v33
	v_sub_f32_e32 v26, v29, v33
	v_add_f32_e32 v12, v12, v19
	v_add_f32_e32 v43, v12, v23
	;; [unrolled: 1-line block ×4, first 2 shown]
	v_fma_f32 v16, -0.5, v12, v5
	v_sub_f32_e32 v12, v28, v22
	v_sub_f32_e32 v28, v23, v19
	;; [unrolled: 1-line block ×3, first 2 shown]
	v_fmamk_f32 v22, v12, 0xbf737871, v16
	v_fmac_f32_e32 v16, 0x3f737871, v12
	v_add_f32_e32 v26, v26, v28
	v_fmac_f32_e32 v22, 0xbf167918, v18
	v_fmac_f32_e32 v16, 0x3f167918, v18
	;; [unrolled: 1-line block ×4, first 2 shown]
	v_add_f32_e32 v26, v29, v23
	v_mul_f32_e32 v23, 0xbe9e377a, v4
	v_fmac_f32_e32 v47, 0x3f4f1bbd, v22
	v_fma_f32 v5, -0.5, v26, v5
	v_sub_f32_e32 v26, v33, v29
	v_mul_f32_e32 v33, 0xbf4f1bbd, v13
	v_add_f32_e32 v39, v42, v47
	v_fmamk_f32 v32, v18, 0x3f737871, v5
	v_fmac_f32_e32 v5, 0xbf737871, v18
	v_add_f32_e32 v19, v26, v19
	v_mul_f32_e32 v18, 0x3f4f1bbd, v14
	v_fmac_f32_e32 v33, 0x3f167918, v16
	v_fmac_f32_e32 v32, 0xbf167918, v12
	;; [unrolled: 1-line block ×3, first 2 shown]
	v_sub_f32_e32 v14, v8, v10
	v_fmac_f32_e32 v18, 0x3f167918, v22
	v_add_f32_e32 v12, v9, v33
	v_fmac_f32_e32 v32, 0x3e9e377a, v19
	v_fmac_f32_e32 v5, 0x3e9e377a, v19
	v_mul_f32_e32 v22, 0xbf737871, v27
	v_sub_f32_e32 v10, v9, v33
	v_add_f32_e32 v38, v11, v18
	v_mul_f32_e32 v19, 0x3f737871, v32
	v_fmac_f32_e32 v23, 0x3f737871, v5
	v_mul_f32_e32 v5, 0xbe9e377a, v5
	v_fmac_f32_e32 v22, 0x3e9e377a, v32
	v_sub_f32_e32 v32, v44, v40
	v_fmac_f32_e32 v19, 0x3e9e377a, v27
	v_add_f32_e32 v28, v0, v23
	v_fmac_f32_e32 v5, 0xbf737871, v4
	v_mul_f32_e32 v4, 0xbf4f1bbd, v16
	v_sub_f32_e32 v16, v11, v18
	v_add_f32_e32 v26, v15, v19
	v_add_f32_e32 v27, v46, v22
	;; [unrolled: 1-line block ×3, first 2 shown]
	v_fmac_f32_e32 v4, 0xbf167918, v13
	v_sub_f32_e32 v9, v1, v5
	v_add_f32_e32 v1, v52, v40
	v_sub_f32_e32 v18, v15, v19
	v_sub_f32_e32 v8, v0, v23
	v_add_f32_e32 v13, v54, v4
	v_sub_f32_e32 v11, v54, v4
	v_fma_f32 v1, -0.5, v1, v2
	v_sub_f32_e32 v4, v49, v45
	v_sub_f32_e32 v19, v46, v22
	v_sub_f32_e32 v5, v53, v41
	v_sub_f32_e32 v23, v48, v52
	v_add_f32_e32 v0, v2, v48
	v_fmamk_f32 v22, v4, 0x3f737871, v1
	v_fmac_f32_e32 v1, 0xbf737871, v4
	v_sub_f32_e32 v15, v17, v43
	v_add_f32_e32 v23, v23, v32
	v_sub_f32_e32 v17, v42, v47
	v_fmac_f32_e32 v22, 0x3f167918, v5
	v_fmac_f32_e32 v1, 0xbf167918, v5
	v_add_f32_e32 v0, v0, v52
	v_sub_f32_e32 v32, v52, v48
	v_sub_f32_e32 v33, v40, v44
	v_fmac_f32_e32 v22, 0x3e9e377a, v23
	v_fmac_f32_e32 v1, 0x3e9e377a, v23
	v_add_f32_e32 v23, v48, v44
	v_add_f32_e32 v0, v0, v40
	;; [unrolled: 1-line block ×3, first 2 shown]
	v_sub_f32_e32 v33, v45, v41
	v_sub_f32_e32 v46, v24, v20
	v_fma_f32 v2, -0.5, v23, v2
	v_add_f32_e32 v0, v0, v44
	v_fmamk_f32 v23, v5, 0xbf737871, v2
	v_fmac_f32_e32 v2, 0x3f737871, v5
	v_sub_f32_e32 v5, v52, v40
	v_fmac_f32_e32 v23, 0x3f167918, v4
	v_fmac_f32_e32 v2, 0xbf167918, v4
	v_add_f32_e32 v4, v3, v49
	v_fmac_f32_e32 v23, 0x3e9e377a, v32
	v_fmac_f32_e32 v2, 0x3e9e377a, v32
	v_add_f32_e32 v4, v4, v53
	v_sub_f32_e32 v32, v49, v53
	v_add_f32_e32 v4, v4, v41
	v_add_f32_e32 v32, v32, v33
	v_sub_f32_e32 v33, v41, v45
	v_add_f32_e32 v42, v4, v45
	v_add_f32_e32 v4, v53, v41
	v_fma_f32 v43, -0.5, v4, v3
	v_sub_f32_e32 v4, v48, v44
	v_fmamk_f32 v44, v4, 0xbf737871, v43
	v_fmac_f32_e32 v43, 0x3f737871, v4
	v_fmac_f32_e32 v44, 0xbf167918, v5
	;; [unrolled: 1-line block ×5, first 2 shown]
	v_add_f32_e32 v32, v49, v45
	v_sub_f32_e32 v45, v30, v34
	v_fmac_f32_e32 v3, -0.5, v32
	v_sub_f32_e32 v32, v53, v49
	v_add_f32_e32 v45, v45, v46
	v_sub_f32_e32 v46, v20, v24
	v_fmamk_f32 v40, v5, 0x3f737871, v3
	v_fmac_f32_e32 v3, 0xbf737871, v5
	v_add_f32_e32 v32, v32, v33
	v_fmac_f32_e32 v40, 0xbf167918, v4
	v_fmac_f32_e32 v3, 0x3f167918, v4
	v_add_f32_e32 v4, v6, v30
	v_fmac_f32_e32 v40, 0x3e9e377a, v32
	v_fmac_f32_e32 v3, 0x3e9e377a, v32
	v_add_f32_e32 v4, v4, v34
	v_sub_f32_e32 v32, v35, v21
	v_add_f32_e32 v4, v4, v20
	v_add_f32_e32 v41, v4, v24
	;; [unrolled: 1-line block ×3, first 2 shown]
	v_sub_f32_e32 v20, v34, v20
	v_fma_f32 v5, -0.5, v4, v6
	v_sub_f32_e32 v4, v31, v25
	v_fmamk_f32 v33, v4, 0x3f737871, v5
	v_fmac_f32_e32 v5, 0xbf737871, v4
	v_fmac_f32_e32 v33, 0x3f167918, v32
	;; [unrolled: 1-line block ×5, first 2 shown]
	v_add_f32_e32 v45, v30, v24
	v_mul_f32_e32 v52, 0xbf167918, v33
	v_fma_f32 v6, -0.5, v45, v6
	v_sub_f32_e32 v45, v34, v30
	v_fmamk_f32 v49, v32, 0xbf737871, v6
	v_fmac_f32_e32 v6, 0x3f737871, v32
	v_sub_f32_e32 v32, v25, v21
	v_add_f32_e32 v45, v45, v46
	v_fmac_f32_e32 v49, 0x3f167918, v4
	v_fmac_f32_e32 v6, 0xbf167918, v4
	v_add_f32_e32 v4, v7, v31
	v_fmac_f32_e32 v49, 0x3e9e377a, v45
	v_fmac_f32_e32 v6, 0x3e9e377a, v45
	v_add_f32_e32 v4, v4, v35
	v_add_f32_e32 v45, v0, v41
	;; [unrolled: 1-line block ×5, first 2 shown]
	v_sub_f32_e32 v21, v21, v25
	v_add_f32_e32 v46, v42, v50
	v_fma_f32 v51, -0.5, v4, v7
	v_sub_f32_e32 v4, v30, v24
	v_sub_f32_e32 v30, v31, v35
	v_fmamk_f32 v24, v4, 0xbf737871, v51
	v_fmac_f32_e32 v51, 0x3f737871, v4
	v_add_f32_e32 v30, v30, v32
	v_fmac_f32_e32 v24, 0xbf167918, v20
	v_fmac_f32_e32 v51, 0x3f167918, v20
	;; [unrolled: 1-line block ×4, first 2 shown]
	v_add_f32_e32 v30, v31, v25
	v_mul_f32_e32 v25, 0xbe9e377a, v6
	v_fmac_f32_e32 v52, 0x3f4f1bbd, v24
	v_fmac_f32_e32 v7, -0.5, v30
	v_sub_f32_e32 v30, v35, v31
	v_mul_f32_e32 v35, 0xbf4f1bbd, v5
	v_add_f32_e32 v48, v44, v52
	v_fmamk_f32 v34, v20, 0x3f737871, v7
	v_add_f32_e32 v21, v30, v21
	v_fmac_f32_e32 v7, 0xbf737871, v20
	v_mul_f32_e32 v20, 0x3f4f1bbd, v33
	v_fmac_f32_e32 v35, 0x3f167918, v51
	v_fmac_f32_e32 v34, 0xbf167918, v4
	;; [unrolled: 1-line block ×4, first 2 shown]
	v_mul_f32_e32 v24, 0xbf737871, v49
	v_fmac_f32_e32 v34, 0x3e9e377a, v21
	v_add_f32_e32 v4, v1, v35
	v_fmac_f32_e32 v7, 0x3e9e377a, v21
	v_add_f32_e32 v47, v22, v20
	v_sub_f32_e32 v20, v22, v20
	v_mul_f32_e32 v21, 0x3f737871, v34
	v_fmac_f32_e32 v24, 0x3e9e377a, v34
	v_mul_f32_e32 v34, 0xbe9e377a, v7
	v_fmac_f32_e32 v25, 0x3f737871, v7
	v_sub_f32_e32 v7, v42, v50
	v_fmac_f32_e32 v21, 0x3e9e377a, v49
	v_add_f32_e32 v31, v40, v24
	v_mul_f32_e32 v49, 0xbf4f1bbd, v51
	v_fmac_f32_e32 v34, 0xbf737871, v6
	v_add_f32_e32 v32, v2, v25
	v_add_f32_e32 v30, v23, v21
	v_sub_f32_e32 v22, v23, v21
	v_sub_f32_e32 v23, v40, v24
	v_mul_lo_u16 v24, v85, 10
	v_fmac_f32_e32 v49, 0xbf167918, v5
	v_add_f32_e32 v33, v3, v34
	v_sub_f32_e32 v6, v0, v41
	v_sub_f32_e32 v21, v44, v52
	v_lshlrev_b32_sdwa v232, v81, v24 dst_sel:DWORD dst_unused:UNUSED_PAD src0_sel:DWORD src1_sel:WORD_0
	ds_write_b128 v232, v[36:39]
	ds_write_b128 v232, v[26:29] offset:16
	ds_write_b128 v232, v[12:15] offset:32
	;; [unrolled: 1-line block ×4, first 2 shown]
	v_mul_u32_u24_e32 v8, 10, v80
	v_add_f32_e32 v5, v43, v49
	v_sub_f32_e32 v0, v2, v25
	v_sub_f32_e32 v2, v1, v35
	;; [unrolled: 1-line block ×3, first 2 shown]
	v_lshlrev_b32_e32 v229, 3, v8
	v_sub_f32_e32 v3, v43, v49
	ds_write_b128 v229, v[45:48]
	ds_write_b128 v229, v[30:33] offset:16
	ds_write_b128 v229, v[4:7] offset:32
	;; [unrolled: 1-line block ×4, first 2 shown]
	v_and_b32_e32 v0, 0xff, v85
	s_waitcnt lgkmcnt(0)
	s_barrier
	buffer_gl0_inv
	ds_read2_b64 v[28:31], v217 offset1:160
	ds_read2_b64 v[54:57], v224 offset0:64 offset1:224
	ds_read2_b64 v[58:61], v228 offset1:160
	ds_read2_b64 v[62:65], v226 offset0:64 offset1:224
	;; [unrolled: 2-line block ×5, first 2 shown]
	v_mul_lo_u16 v0, 0xcd, v0
	v_lshrrev_b16 v74, 11, v0
	v_mul_lo_u16 v0, v74, 10
	v_sub_nc_u16 v0, v85, v0
	v_and_b32_e32 v75, 0xff, v0
	v_mad_u64_u32 v[16:17], null, 0x48, v75, s[10:11]
	s_clause 0x4
	global_load_dwordx4 v[0:3], v[16:17], off offset:48
	global_load_dwordx4 v[4:7], v[16:17], off offset:32
	;; [unrolled: 1-line block ×3, first 2 shown]
	global_load_dwordx4 v[12:15], v[16:17], off
	global_load_dwordx2 v[172:173], v[16:17], off offset:64
	s_waitcnt vmcnt(4) lgkmcnt(2)
	v_mul_f32_e32 v43, v92, v1
	s_waitcnt vmcnt(3)
	v_mul_f32_e32 v41, v76, v5
	s_waitcnt vmcnt(2)
	;; [unrolled: 2-line block ×3, first 2 shown]
	v_mul_f32_e32 v18, v55, v13
	s_waitcnt vmcnt(0) lgkmcnt(0)
	v_mul_f32_e32 v16, v35, v173
	v_mul_f32_e32 v39, v54, v13
	;; [unrolled: 1-line block ×4, first 2 shown]
	v_fma_f32 v38, v54, v12, -v18
	v_fma_f32 v47, v34, v172, -v16
	v_mov_b32_e32 v16, 0xcccd
	v_mul_f32_e32 v18, v59, v15
	v_fmac_f32_e32 v48, v59, v14
	v_fmac_f32_e32 v39, v55, v12
	v_fmac_f32_e32 v45, v35, v172
	v_mul_u32_u24_sdwa v16, v80, v16 dst_sel:DWORD dst_unused:UNUSED_PAD src0_sel:WORD_0 src1_sel:DWORD
	v_fma_f32 v50, v58, v14, -v18
	v_mul_f32_e32 v18, v63, v9
	v_fmac_f32_e32 v41, v77, v4
	v_mul_f32_e32 v51, v88, v7
	v_lshrrev_b32_e32 v72, 19, v16
	v_mul_f32_e32 v53, v96, v3
	v_fma_f32 v42, v62, v8, -v18
	v_mul_f32_e32 v18, v67, v11
	v_mul_f32_e32 v49, v66, v11
	v_mul_lo_u16 v16, v72, 10
	v_fmac_f32_e32 v53, v97, v2
	v_fmac_f32_e32 v51, v89, v6
	v_fma_f32 v52, v66, v10, -v18
	v_mul_f32_e32 v18, v77, v5
	v_sub_nc_u16 v73, v80, v16
	v_fmac_f32_e32 v49, v67, v10
	v_fmac_f32_e32 v40, v63, v8
	;; [unrolled: 1-line block ×3, first 2 shown]
	v_fma_f32 v44, v76, v4, -v18
	v_mul_lo_u16 v16, 0x48, v73
	v_mul_f32_e32 v18, v89, v7
	v_and_b32_e32 v16, 0xffff, v16
	v_fma_f32 v54, v88, v6, -v18
	v_mul_f32_e32 v18, v93, v1
	v_add_co_u32 v58, s4, s10, v16
	v_fma_f32 v46, v92, v0, -v18
	v_mul_f32_e32 v18, v97, v3
	v_add_co_ci_u32_e64 v59, null, s11, 0, s4
	v_fma_f32 v55, v96, v2, -v18
	s_clause 0x4
	global_load_dwordx4 v[16:19], v[58:59], off offset:48
	global_load_dwordx4 v[20:23], v[58:59], off offset:32
	;; [unrolled: 1-line block ×3, first 2 shown]
	global_load_dwordx4 v[32:35], v[58:59], off
	global_load_dwordx2 v[176:177], v[58:59], off offset:64
	s_waitcnt vmcnt(0)
	s_barrier
	buffer_gl0_inv
	v_mul_f32_e32 v97, v98, v19
	v_mul_f32_e32 v93, v68, v27
	;; [unrolled: 1-line block ×5, first 2 shown]
	v_fmac_f32_e32 v97, v99, v18
	v_fmac_f32_e32 v93, v69, v26
	v_fma_f32 v76, v56, v32, -v62
	v_mul_f32_e32 v56, v61, v35
	v_fmac_f32_e32 v77, v57, v32
	v_fmac_f32_e32 v83, v61, v34
	v_sub_f32_e32 v57, v49, v51
	v_sub_f32_e32 v61, v55, v54
	v_fma_f32 v82, v60, v34, -v56
	v_mul_f32_e32 v56, v65, v25
	v_sub_f32_e32 v60, v50, v52
	v_sub_f32_e32 v62, v54, v55
	v_mul_f32_e32 v89, v64, v25
	v_fma_f32 v88, v64, v24, -v56
	v_mul_f32_e32 v56, v69, v27
	v_add_f32_e32 v60, v60, v61
	v_sub_f32_e32 v61, v52, v50
	v_fmac_f32_e32 v89, v65, v24
	v_fma_f32 v92, v68, v26, -v56
	v_mul_f32_e32 v56, v79, v21
	v_add_f32_e32 v61, v61, v62
	v_fma_f32 v96, v78, v20, -v56
	v_mul_f32_e32 v78, v78, v21
	v_mul_f32_e32 v56, v91, v23
	v_fmac_f32_e32 v78, v79, v20
	v_fma_f32 v79, v90, v22, -v56
	v_mul_f32_e32 v90, v90, v23
	v_mul_f32_e32 v56, v95, v17
	v_fmac_f32_e32 v90, v91, v22
	;; [unrolled: 4-line block ×3, first 2 shown]
	v_fma_f32 v95, v98, v18, -v56
	v_mul_f32_e32 v56, v37, v177
	v_fma_f32 v98, v36, v176, -v56
	v_add_f32_e32 v56, v52, v54
	v_mul_f32_e32 v36, v36, v177
	v_fma_f32 v59, -0.5, v56, v28
	v_sub_f32_e32 v56, v48, v53
	v_fmac_f32_e32 v36, v37, v176
	v_add_f32_e32 v37, v28, v50
	v_fmamk_f32 v58, v56, 0x3f737871, v59
	v_fmac_f32_e32 v59, 0xbf737871, v56
	v_add_f32_e32 v37, v37, v52
	v_sub_f32_e32 v52, v52, v54
	v_fmac_f32_e32 v58, 0x3f167918, v57
	v_fmac_f32_e32 v59, 0xbf167918, v57
	v_add_f32_e32 v37, v37, v54
	v_sub_f32_e32 v54, v48, v49
	v_fmac_f32_e32 v58, 0x3e9e377a, v60
	v_fmac_f32_e32 v59, 0x3e9e377a, v60
	v_add_f32_e32 v60, v50, v55
	v_sub_f32_e32 v50, v50, v55
	v_add_f32_e32 v37, v37, v55
	v_fma_f32 v28, -0.5, v60, v28
	v_fmamk_f32 v60, v57, 0xbf737871, v28
	v_fmac_f32_e32 v28, 0x3f737871, v57
	v_fmac_f32_e32 v60, 0x3f167918, v56
	;; [unrolled: 1-line block ×3, first 2 shown]
	v_add_f32_e32 v56, v29, v48
	v_fmac_f32_e32 v60, 0x3e9e377a, v61
	v_fmac_f32_e32 v28, 0x3e9e377a, v61
	v_add_f32_e32 v56, v56, v49
	v_add_f32_e32 v56, v56, v51
	;; [unrolled: 1-line block ×4, first 2 shown]
	v_fma_f32 v99, -0.5, v56, v29
	v_sub_f32_e32 v56, v53, v51
	v_fmamk_f32 v55, v50, 0xbf737871, v99
	v_fmac_f32_e32 v99, 0x3f737871, v50
	v_add_f32_e32 v54, v54, v56
	v_sub_f32_e32 v56, v46, v47
	v_fmac_f32_e32 v55, 0xbf167918, v52
	v_fmac_f32_e32 v99, 0x3f167918, v52
	;; [unrolled: 1-line block ×4, first 2 shown]
	v_add_f32_e32 v54, v48, v53
	v_sub_f32_e32 v48, v49, v48
	v_sub_f32_e32 v49, v51, v53
	;; [unrolled: 1-line block ×3, first 2 shown]
	v_fma_f32 v29, -0.5, v54, v29
	v_sub_f32_e32 v54, v47, v46
	v_add_f32_e32 v48, v48, v49
	v_add_f32_e32 v49, v44, v46
	v_fmamk_f32 v100, v52, 0x3f737871, v29
	v_fmac_f32_e32 v29, 0xbf737871, v52
	v_sub_f32_e32 v52, v41, v43
	v_fma_f32 v49, -0.5, v49, v38
	v_add_f32_e32 v53, v53, v54
	v_fmac_f32_e32 v100, 0xbf167918, v50
	v_fmac_f32_e32 v29, 0x3f167918, v50
	v_sub_f32_e32 v50, v40, v45
	v_sub_f32_e32 v54, v44, v42
	v_fmac_f32_e32 v100, 0x3e9e377a, v48
	v_fmac_f32_e32 v29, 0x3e9e377a, v48
	v_fmamk_f32 v51, v50, 0x3f737871, v49
	v_fmac_f32_e32 v49, 0xbf737871, v50
	v_add_f32_e32 v48, v38, v42
	v_add_f32_e32 v54, v54, v56
	v_fmac_f32_e32 v51, 0x3f167918, v52
	v_fmac_f32_e32 v49, 0xbf167918, v52
	v_add_f32_e32 v48, v48, v44
	v_sub_f32_e32 v44, v44, v46
	v_fmac_f32_e32 v51, 0x3e9e377a, v53
	v_fmac_f32_e32 v49, 0x3e9e377a, v53
	v_add_f32_e32 v53, v42, v47
	v_add_f32_e32 v48, v48, v46
	v_sub_f32_e32 v42, v42, v47
	v_sub_f32_e32 v46, v40, v41
	v_fmac_f32_e32 v38, -0.5, v53
	v_add_f32_e32 v48, v48, v47
	v_fmamk_f32 v53, v52, 0xbf737871, v38
	v_fmac_f32_e32 v38, 0x3f737871, v52
	v_add_f32_e32 v52, v41, v43
	v_add_f32_e32 v68, v37, v48
	v_sub_f32_e32 v62, v37, v48
	v_fmac_f32_e32 v53, 0x3f167918, v50
	v_fmac_f32_e32 v38, 0xbf167918, v50
	v_fma_f32 v52, -0.5, v52, v39
	v_add_f32_e32 v50, v39, v40
	v_sub_f32_e32 v37, v83, v97
	v_fmac_f32_e32 v53, 0x3e9e377a, v54
	v_fmac_f32_e32 v38, 0x3e9e377a, v54
	v_fmamk_f32 v47, v42, 0xbf737871, v52
	v_sub_f32_e32 v54, v45, v43
	v_fmac_f32_e32 v52, 0x3f737871, v42
	v_add_f32_e32 v50, v50, v41
	v_sub_f32_e32 v48, v91, v98
	v_fmac_f32_e32 v47, 0xbf167918, v44
	v_add_f32_e32 v46, v46, v54
	v_fmac_f32_e32 v52, 0x3f167918, v44
	v_add_f32_e32 v50, v50, v43
	v_fmac_f32_e32 v47, 0x3e9e377a, v46
	v_fmac_f32_e32 v52, 0x3e9e377a, v46
	v_add_f32_e32 v46, v40, v45
	v_sub_f32_e32 v40, v41, v40
	v_sub_f32_e32 v41, v43, v45
	v_add_f32_e32 v50, v50, v45
	v_mul_f32_e32 v43, 0xbf4f1bbd, v49
	v_fmac_f32_e32 v39, -0.5, v46
	v_mul_f32_e32 v45, 0xbf737871, v53
	v_add_f32_e32 v40, v40, v41
	v_add_f32_e32 v69, v61, v50
	v_fmac_f32_e32 v43, 0x3f167918, v52
	v_fmamk_f32 v46, v44, 0x3f737871, v39
	v_fmac_f32_e32 v39, 0xbf737871, v44
	v_mul_f32_e32 v44, 0xbf167918, v51
	v_sub_f32_e32 v63, v61, v50
	v_add_f32_e32 v56, v59, v43
	v_fmac_f32_e32 v46, 0xbf167918, v42
	v_fmac_f32_e32 v39, 0x3f167918, v42
	v_mul_f32_e32 v42, 0xbe9e377a, v38
	v_fmac_f32_e32 v44, 0x3f4f1bbd, v47
	v_sub_f32_e32 v54, v59, v43
	v_fmac_f32_e32 v46, 0x3e9e377a, v40
	v_fmac_f32_e32 v39, 0x3e9e377a, v40
	v_mul_f32_e32 v40, 0x3f167918, v47
	v_add_f32_e32 v71, v55, v44
	v_sub_f32_e32 v59, v55, v44
	v_mul_f32_e32 v41, 0x3f737871, v46
	v_fmac_f32_e32 v42, 0x3f737871, v39
	v_mul_f32_e32 v39, 0xbe9e377a, v39
	v_fmac_f32_e32 v40, 0x3f4f1bbd, v51
	v_sub_f32_e32 v43, v83, v93
	v_fmac_f32_e32 v41, 0x3e9e377a, v53
	v_add_f32_e32 v66, v28, v42
	v_fmac_f32_e32 v39, 0xbf737871, v38
	v_mul_f32_e32 v38, 0xbf4f1bbd, v52
	v_add_f32_e32 v70, v58, v40
	v_add_f32_e32 v64, v60, v41
	v_sub_f32_e32 v58, v58, v40
	v_add_f32_e32 v67, v29, v39
	v_sub_f32_e32 v53, v29, v39
	v_add_f32_e32 v29, v92, v79
	v_fmac_f32_e32 v38, 0xbf167918, v49
	v_sub_f32_e32 v60, v60, v41
	v_sub_f32_e32 v39, v93, v90
	;; [unrolled: 1-line block ×3, first 2 shown]
	v_fma_f32 v29, -0.5, v29, v30
	v_add_f32_e32 v57, v99, v38
	v_sub_f32_e32 v55, v99, v38
	v_sub_f32_e32 v41, v95, v79
	;; [unrolled: 1-line block ×3, first 2 shown]
	v_fmamk_f32 v38, v37, 0x3f737871, v29
	v_fmac_f32_e32 v29, 0xbf737871, v37
	v_add_f32_e32 v28, v30, v82
	v_add_f32_e32 v40, v40, v41
	v_sub_f32_e32 v41, v92, v82
	v_fmac_f32_e32 v38, 0x3f167918, v39
	v_fmac_f32_e32 v29, 0xbf167918, v39
	v_sub_f32_e32 v42, v79, v95
	v_sub_f32_e32 v44, v97, v90
	v_add_f32_e32 v28, v28, v92
	v_fmac_f32_e32 v38, 0x3e9e377a, v40
	v_fmac_f32_e32 v29, 0x3e9e377a, v40
	v_add_f32_e32 v40, v82, v95
	v_add_f32_e32 v41, v41, v42
	v_sub_f32_e32 v42, v92, v79
	v_add_f32_e32 v43, v43, v44
	v_add_f32_e32 v28, v28, v79
	v_fma_f32 v30, -0.5, v40, v30
	v_sub_f32_e32 v44, v90, v97
	v_fmac_f32_e32 v45, 0x3e9e377a, v46
	v_sub_f32_e32 v46, v88, v96
	v_sub_f32_e32 v47, v98, v91
	v_fmamk_f32 v40, v39, 0xbf737871, v30
	v_fmac_f32_e32 v30, 0x3f737871, v39
	v_add_f32_e32 v65, v100, v45
	v_sub_f32_e32 v61, v100, v45
	v_add_f32_e32 v46, v46, v47
	v_fmac_f32_e32 v40, 0x3f167918, v37
	v_fmac_f32_e32 v30, 0xbf167918, v37
	v_add_f32_e32 v37, v31, v83
	v_sub_f32_e32 v49, v36, v94
	v_add_f32_e32 v28, v28, v95
	v_fmac_f32_e32 v40, 0x3e9e377a, v41
	v_fmac_f32_e32 v30, 0x3e9e377a, v41
	v_add_f32_e32 v37, v37, v93
	v_add_f32_e32 v37, v37, v90
	;; [unrolled: 1-line block ×4, first 2 shown]
	v_fma_f32 v99, -0.5, v37, v31
	v_sub_f32_e32 v37, v82, v95
	v_fmamk_f32 v41, v37, 0xbf737871, v99
	v_fmac_f32_e32 v99, 0x3f737871, v37
	v_fmac_f32_e32 v41, 0xbf167918, v42
	;; [unrolled: 1-line block ×5, first 2 shown]
	v_add_f32_e32 v43, v83, v97
	v_fmac_f32_e32 v31, -0.5, v43
	v_sub_f32_e32 v43, v93, v83
	v_fmamk_f32 v79, v42, 0x3f737871, v31
	v_fmac_f32_e32 v31, 0xbf737871, v42
	v_add_f32_e32 v43, v43, v44
	v_sub_f32_e32 v44, v78, v94
	v_fmac_f32_e32 v79, 0xbf167918, v37
	v_fmac_f32_e32 v31, 0x3f167918, v37
	v_add_f32_e32 v37, v76, v88
	v_fmac_f32_e32 v79, 0x3e9e377a, v43
	v_fmac_f32_e32 v31, 0x3e9e377a, v43
	v_add_f32_e32 v37, v37, v96
	v_sub_f32_e32 v43, v89, v36
	v_add_f32_e32 v37, v37, v91
	v_add_f32_e32 v42, v37, v98
	;; [unrolled: 1-line block ×3, first 2 shown]
	v_fma_f32 v37, -0.5, v37, v76
	v_fmamk_f32 v45, v43, 0x3f737871, v37
	v_fmac_f32_e32 v37, 0xbf737871, v43
	v_fmac_f32_e32 v45, 0x3f167918, v44
	;; [unrolled: 1-line block ×5, first 2 shown]
	v_add_f32_e32 v46, v88, v98
	v_mul_f32_e32 v90, 0xbf4f1bbd, v37
	v_fmac_f32_e32 v76, -0.5, v46
	v_sub_f32_e32 v46, v96, v88
	v_fmamk_f32 v47, v44, 0xbf737871, v76
	v_fmac_f32_e32 v76, 0x3f737871, v44
	v_add_f32_e32 v44, v78, v94
	v_add_f32_e32 v46, v46, v48
	v_sub_f32_e32 v48, v89, v78
	v_fmac_f32_e32 v47, 0x3f167918, v43
	v_fmac_f32_e32 v76, 0xbf167918, v43
	v_fma_f32 v82, -0.5, v44, v77
	v_sub_f32_e32 v44, v88, v98
	v_add_f32_e32 v43, v77, v89
	v_fmac_f32_e32 v47, 0x3e9e377a, v46
	v_fmac_f32_e32 v76, 0x3e9e377a, v46
	v_sub_f32_e32 v46, v96, v91
	v_fmamk_f32 v51, v44, 0xbf737871, v82
	v_fmac_f32_e32 v82, 0x3f737871, v44
	v_add_f32_e32 v48, v48, v49
	v_add_f32_e32 v43, v43, v78
	v_mul_f32_e32 v92, 0xbf737871, v47
	v_fmac_f32_e32 v51, 0xbf167918, v46
	v_fmac_f32_e32 v82, 0x3f167918, v46
	v_mul_f32_e32 v91, 0xbf167918, v45
	v_add_f32_e32 v43, v43, v94
	v_fmac_f32_e32 v51, 0x3e9e377a, v48
	v_fmac_f32_e32 v82, 0x3e9e377a, v48
	v_add_f32_e32 v48, v89, v36
	v_add_f32_e32 v43, v43, v36
	v_sub_f32_e32 v36, v94, v36
	v_fmac_f32_e32 v91, 0x3f4f1bbd, v51
	v_fmac_f32_e32 v90, 0x3f167918, v82
	v_fmac_f32_e32 v77, -0.5, v48
	v_sub_f32_e32 v48, v78, v89
	v_mul_f32_e32 v89, 0xbe9e377a, v76
	v_mul_f32_e32 v78, 0x3f167918, v51
	v_add_f32_e32 v49, v39, v43
	v_fmamk_f32 v83, v46, 0x3f737871, v77
	v_fmac_f32_e32 v77, 0xbf737871, v46
	v_add_f32_e32 v36, v48, v36
	v_add_f32_e32 v48, v28, v42
	v_sub_f32_e32 v42, v28, v42
	v_fmac_f32_e32 v83, 0xbf167918, v44
	v_fmac_f32_e32 v77, 0x3f167918, v44
	v_fmac_f32_e32 v78, 0x3f4f1bbd, v45
	v_add_f32_e32 v51, v41, v91
	v_sub_f32_e32 v43, v39, v43
	v_fmac_f32_e32 v83, 0x3e9e377a, v36
	v_fmac_f32_e32 v77, 0x3e9e377a, v36
	v_add_f32_e32 v36, v29, v90
	v_add_f32_e32 v50, v38, v78
	v_sub_f32_e32 v38, v38, v78
	v_mul_f32_e32 v88, 0x3f737871, v83
	v_fmac_f32_e32 v89, 0x3f737871, v77
	v_mul_f32_e32 v77, 0xbe9e377a, v77
	v_fmac_f32_e32 v92, 0x3e9e377a, v83
	v_sub_f32_e32 v39, v41, v91
	v_fmac_f32_e32 v88, 0x3e9e377a, v47
	v_add_f32_e32 v46, v30, v89
	v_fmac_f32_e32 v77, 0xbf737871, v76
	v_mul_f32_e32 v76, 0xbf4f1bbd, v82
	v_sub_f32_e32 v28, v30, v89
	v_sub_f32_e32 v30, v29, v90
	v_add_f32_e32 v44, v40, v88
	v_add_f32_e32 v47, v31, v77
	v_fmac_f32_e32 v76, 0xbf167918, v37
	v_sub_f32_e32 v29, v31, v77
	v_add_f32_e32 v45, v79, v92
	v_sub_f32_e32 v40, v40, v88
	v_sub_f32_e32 v41, v79, v92
	v_add_f32_e32 v37, v99, v76
	v_sub_f32_e32 v31, v99, v76
	v_mov_b32_e32 v76, 0x64
	v_mul_u32_u24_sdwa v74, v74, v76 dst_sel:DWORD dst_unused:UNUSED_PAD src0_sel:WORD_0 src1_sel:DWORD
	v_add_lshl_u32 v230, v74, v75, 3
	ds_write2_b64 v230, v[68:69], v[70:71] offset1:10
	ds_write2_b64 v230, v[64:65], v[66:67] offset0:20 offset1:30
	ds_write2_b64 v230, v[56:57], v[62:63] offset0:40 offset1:50
	;; [unrolled: 1-line block ×4, first 2 shown]
	v_mad_u16 v52, 0x64, v72, v73
	v_lshlrev_b32_sdwa v231, v81, v52 dst_sel:DWORD dst_unused:UNUSED_PAD src0_sel:DWORD src1_sel:WORD_0
	ds_write2_b64 v231, v[48:49], v[50:51] offset1:10
	ds_write2_b64 v231, v[44:45], v[46:47] offset0:20 offset1:30
	ds_write2_b64 v231, v[36:37], v[42:43] offset0:40 offset1:50
	;; [unrolled: 1-line block ×4, first 2 shown]
	v_add_nc_u32_e32 v28, 0xffffff9c, v216
	s_waitcnt lgkmcnt(0)
	s_barrier
	buffer_gl0_inv
	ds_read2_b64 v[60:63], v217 offset1:160
	ds_read2_b64 v[52:55], v228 offset1:160
	ds_read2_b64 v[38:41], v225 offset0:64 offset1:224
	ds_read2_b64 v[68:71], v222 offset0:64 offset1:224
	;; [unrolled: 1-line block ×3, first 2 shown]
	ds_read2_b64 v[42:45], v221 offset1:160
	ds_read2_b64 v[56:59], v224 offset0:64 offset1:224
	ds_read2_b64 v[46:49], v223 offset1:160
	ds_read2_b64 v[72:75], v227 offset1:160
	ds_read2_b64 v[64:67], v220 offset0:64 offset1:224
	v_cndmask_b32_e32 v82, v28, v216, vcc_lo
	v_mov_b32_e32 v50, 0x147b
	v_mul_i32_i24_e32 v28, 24, v82
	v_mul_hi_i32_i24_e32 v29, 24, v82
	v_add_co_u32 v28, vcc_lo, s10, v28
	v_add_co_ci_u32_e32 v29, vcc_lo, s11, v29, vcc_lo
	s_clause 0x1
	global_load_dwordx2 v[174:175], v[28:29], off offset:736
	global_load_dwordx4 v[28:31], v[28:29], off offset:720
	v_cmp_lt_u16_e32 vcc_lo, 0x63, v85
	s_waitcnt vmcnt(1) lgkmcnt(6)
	v_mul_f32_e32 v90, v70, v175
	s_waitcnt vmcnt(0)
	v_mul_f32_e32 v36, v55, v29
	v_mul_f32_e32 v88, v38, v31
	v_fmac_f32_e32 v90, v71, v174
	v_fma_f32 v83, v54, v28, -v36
	v_mul_f32_e32 v54, v54, v29
	v_mul_f32_e32 v36, v39, v31
	v_fmac_f32_e32 v88, v39, v30
	v_fmac_f32_e32 v54, v55, v28
	v_fma_f32 v55, v38, v30, -v36
	v_mul_f32_e32 v36, v71, v175
	v_sub_f32_e32 v55, v60, v55
	v_fma_f32 v89, v70, v174, -v36
	v_lshrrev_b16 v36, 2, v80
	v_fma_f32 v60, v60, 2.0, -v55
	v_mul_u32_u24_sdwa v36, v36, v50 dst_sel:DWORD dst_unused:UNUSED_PAD src0_sel:WORD_0 src1_sel:DWORD
	v_lshrrev_b32_e32 v70, 17, v36
	v_mul_lo_u16 v36, 0x64, v70
	v_sub_nc_u16 v71, v80, v36
	v_mul_lo_u16 v36, v71, 24
	v_mad_u16 v70, 0x190, v70, v71
	v_and_b32_e32 v36, 0xffff, v36
	v_lshlrev_b32_sdwa v239, v81, v70 dst_sel:DWORD dst_unused:UNUSED_PAD src0_sel:DWORD src1_sel:WORD_0
	v_add_co_u32 v36, s4, s10, v36
	v_add_co_ci_u32_e64 v37, null, s11, 0, s4
	s_clause 0x1
	global_load_dwordx2 v[178:179], v[36:37], off offset:736
	global_load_dwordx4 v[36:39], v[36:37], off offset:720
	v_add_nc_u32_e32 v241, 0x400, v239
	s_waitcnt vmcnt(1) lgkmcnt(4)
	v_mul_f32_e32 v98, v42, v179
	s_waitcnt vmcnt(0)
	v_mul_f32_e32 v51, v77, v37
	v_mul_f32_e32 v96, v40, v39
	;; [unrolled: 1-line block ×3, first 2 shown]
	v_fmac_f32_e32 v98, v43, v178
	v_fma_f32 v80, v76, v36, -v51
	v_mul_f32_e32 v51, v41, v39
	v_fmac_f32_e32 v94, v77, v36
	v_fmac_f32_e32 v96, v41, v38
	v_fma_f32 v95, v40, v38, -v51
	v_mul_f32_e32 v40, v43, v179
	v_fma_f32 v97, v42, v178, -v40
	v_lshrrev_b16 v40, 2, v87
	v_mul_u32_u24_sdwa v40, v40, v50 dst_sel:DWORD dst_unused:UNUSED_PAD src0_sel:WORD_0 src1_sel:DWORD
	v_lshrrev_b32_e32 v76, 17, v40
	v_mul_lo_u16 v40, 0x64, v76
	v_sub_nc_u16 v77, v87, v40
	v_mul_lo_u16 v40, v77, 24
	v_mad_u16 v70, 0x190, v76, v77
	v_and_b32_e32 v40, 0xffff, v40
	v_lshlrev_b32_sdwa v240, v81, v70 dst_sel:DWORD dst_unused:UNUSED_PAD src0_sel:DWORD src1_sel:WORD_0
	v_add_co_u32 v40, s4, s10, v40
	v_add_co_ci_u32_e64 v41, null, s11, 0, s4
	s_clause 0x1
	global_load_dwordx2 v[180:181], v[40:41], off offset:736
	global_load_dwordx4 v[40:43], v[40:41], off offset:720
	v_add_nc_u32_e32 v235, 0x400, v240
	s_waitcnt vmcnt(1)
	v_mul_f32_e32 v107, v44, v181
	s_waitcnt vmcnt(0)
	v_mul_f32_e32 v51, v79, v41
	s_waitcnt lgkmcnt(2)
	v_mul_f32_e32 v105, v46, v43
	v_mul_f32_e32 v103, v78, v41
	v_fmac_f32_e32 v107, v45, v180
	v_fma_f32 v102, v78, v40, -v51
	v_mul_f32_e32 v51, v47, v43
	v_fmac_f32_e32 v103, v79, v40
	v_fmac_f32_e32 v105, v47, v42
	v_fma_f32 v104, v46, v42, -v51
	v_mul_f32_e32 v46, v45, v181
	v_fma_f32 v106, v44, v180, -v46
	v_add_nc_u16 v44, v85, 0x1e0
	v_lshrrev_b16 v45, 2, v44
	v_mul_u32_u24_sdwa v45, v45, v50 dst_sel:DWORD dst_unused:UNUSED_PAD src0_sel:WORD_0 src1_sel:DWORD
	v_lshrrev_b32_e32 v78, 17, v45
	v_mul_lo_u16 v45, 0x64, v78
	v_sub_nc_u16 v79, v44, v45
	v_mul_lo_u16 v44, v79, 24
	v_and_b32_e32 v44, 0xffff, v44
	v_add_co_u32 v44, s4, s10, v44
	v_add_co_ci_u32_e64 v45, null, s11, 0, s4
	s_clause 0x1
	global_load_dwordx2 v[182:183], v[44:45], off offset:736
	global_load_dwordx4 v[44:47], v[44:45], off offset:720
	s_waitcnt vmcnt(0) lgkmcnt(1)
	v_mul_f32_e32 v51, v73, v45
	v_mul_f32_e32 v111, v48, v47
	;; [unrolled: 1-line block ×3, first 2 shown]
	v_fma_f32 v108, v72, v44, -v51
	v_mul_f32_e32 v51, v49, v47
	v_fmac_f32_e32 v111, v49, v46
	v_fmac_f32_e32 v109, v73, v44
	v_fma_f32 v110, v48, v46, -v51
	s_waitcnt lgkmcnt(0)
	v_mul_f32_e32 v48, v65, v183
	v_fma_f32 v112, v64, v182, -v48
	v_add_nc_u16 v48, v85, 0x280
	v_mul_f32_e32 v64, v64, v183
	v_lshrrev_b16 v49, 2, v48
	v_fmac_f32_e32 v64, v65, v182
	v_mul_u32_u24_sdwa v49, v49, v50 dst_sel:DWORD dst_unused:UNUSED_PAD src0_sel:WORD_0 src1_sel:DWORD
	v_lshrrev_b32_e32 v72, 17, v49
	v_mul_lo_u16 v49, 0x64, v72
	v_sub_nc_u16 v73, v48, v49
	v_mul_lo_u16 v48, v73, 24
	v_and_b32_e32 v48, 0xffff, v48
	v_add_co_u32 v48, s4, s10, v48
	v_add_co_ci_u32_e64 v49, null, s11, 0, s4
	s_clause 0x1
	global_load_dwordx2 v[184:185], v[48:49], off offset:736
	global_load_dwordx4 v[48:51], v[48:49], off offset:720
	s_waitcnt vmcnt(0)
	s_barrier
	buffer_gl0_inv
	v_mul_f32_e32 v118, v66, v185
	v_mul_f32_e32 v65, v75, v49
	;; [unrolled: 1-line block ×4, first 2 shown]
	v_fmac_f32_e32 v118, v67, v184
	v_fma_f32 v113, v74, v48, -v65
	v_mul_f32_e32 v65, v69, v51
	v_fmac_f32_e32 v114, v75, v48
	v_fmac_f32_e32 v116, v69, v50
	v_fma_f32 v115, v68, v50, -v65
	v_mul_f32_e32 v65, v67, v185
	v_sub_f32_e32 v67, v54, v90
	v_fma_f32 v117, v66, v184, -v65
	v_sub_f32_e32 v65, v61, v88
	v_sub_f32_e32 v66, v83, v89
	v_fma_f32 v54, v54, 2.0, -v67
	v_sub_f32_e32 v90, v55, v67
	v_fma_f32 v61, v61, 2.0, -v65
	v_fma_f32 v68, v83, 2.0, -v66
	v_add_f32_e32 v91, v65, v66
	v_fma_f32 v92, v55, 2.0, -v90
	v_sub_f32_e32 v55, v63, v96
	v_sub_f32_e32 v75, v61, v54
	;; [unrolled: 1-line block ×4, first 2 shown]
	v_fma_f32 v93, v65, 2.0, -v91
	v_sub_f32_e32 v83, v114, v118
	v_fma_f32 v89, v61, 2.0, -v75
	v_fma_f32 v88, v60, 2.0, -v74
	;; [unrolled: 1-line block ×4, first 2 shown]
	v_sub_f32_e32 v62, v80, v97
	v_sub_f32_e32 v63, v94, v98
	v_fma_f32 v65, v80, 2.0, -v62
	v_fma_f32 v66, v94, 2.0, -v63
	v_sub_f32_e32 v98, v54, v63
	v_add_f32_e32 v99, v55, v62
	v_sub_f32_e32 v80, v113, v117
	v_sub_f32_e32 v94, v60, v65
	;; [unrolled: 1-line block ×3, first 2 shown]
	v_fma_f32 v100, v54, 2.0, -v98
	v_fma_f32 v101, v55, 2.0, -v99
	v_sub_f32_e32 v54, v56, v104
	v_fma_f32 v96, v60, 2.0, -v94
	v_fma_f32 v97, v61, 2.0, -v95
	v_sub_f32_e32 v55, v57, v105
	v_sub_f32_e32 v60, v102, v106
	;; [unrolled: 1-line block ×3, first 2 shown]
	v_fma_f32 v56, v56, 2.0, -v54
	v_fma_f32 v57, v57, 2.0, -v55
	;; [unrolled: 1-line block ×4, first 2 shown]
	v_sub_f32_e32 v104, v54, v61
	v_add_f32_e32 v105, v55, v60
	v_sub_f32_e32 v68, v56, v62
	v_sub_f32_e32 v69, v57, v63
	v_fma_f32 v106, v54, 2.0, -v104
	v_fma_f32 v107, v55, 2.0, -v105
	v_sub_f32_e32 v54, v58, v110
	v_sub_f32_e32 v55, v59, v111
	v_fma_f32 v102, v56, 2.0, -v68
	v_fma_f32 v103, v57, 2.0, -v69
	;; [unrolled: 1-line block ×4, first 2 shown]
	v_sub_f32_e32 v58, v108, v112
	v_sub_f32_e32 v59, v109, v64
	v_add_f32_e32 v63, v55, v58
	v_fma_f32 v61, v109, 2.0, -v59
	v_sub_f32_e32 v62, v54, v59
	v_sub_f32_e32 v59, v53, v116
	v_fma_f32 v60, v108, 2.0, -v58
	v_fma_f32 v67, v55, 2.0, -v63
	v_sub_f32_e32 v61, v57, v61
	v_sub_f32_e32 v58, v52, v115
	v_fma_f32 v55, v53, 2.0, -v59
	v_fma_f32 v53, v114, 2.0, -v83
	;; [unrolled: 1-line block ×6, first 2 shown]
	v_sub_f32_e32 v53, v55, v53
	v_sub_f32_e32 v60, v56, v60
	;; [unrolled: 1-line block ×3, first 2 shown]
	v_fma_f32 v57, v55, 2.0, -v53
	v_add_f32_e32 v55, v59, v80
	v_cndmask_b32_e64 v80, 0, 0x190, vcc_lo
	v_fma_f32 v64, v56, 2.0, -v60
	v_fma_f32 v56, v54, 2.0, -v52
	v_sub_f32_e32 v54, v58, v83
	v_fma_f32 v59, v59, 2.0, -v55
	v_add_lshl_u32 v234, v82, v80, 3
	v_fma_f32 v58, v58, 2.0, -v54
	v_add_nc_u32_e32 v237, 0x400, v234
	ds_write2_b64 v234, v[88:89], v[92:93] offset1:100
	ds_write2_b64 v237, v[74:75], v[90:91] offset0:72 offset1:172
	ds_write2_b64 v239, v[96:97], v[100:101] offset1:100
	ds_write2_b64 v241, v[94:95], v[98:99] offset0:72 offset1:172
	ds_write2_b64 v235, v[68:69], v[104:105] offset0:72 offset1:172
	v_mad_u16 v68, 0x190, v78, v79
	ds_write2_b64 v240, v[102:103], v[106:107] offset1:100
	v_mad_u64_u32 v[104:105], null, v216, 24, s[10:11]
	v_lshlrev_b32_sdwa v236, v81, v68 dst_sel:DWORD dst_unused:UNUSED_PAD src0_sel:DWORD src1_sel:WORD_0
	v_add_nc_u32_e32 v238, 0x400, v236
	ds_write2_b64 v236, v[64:65], v[66:67] offset1:100
	ds_write2_b64 v238, v[60:61], v[62:63] offset0:72 offset1:172
	v_mad_u16 v60, 0x190, v72, v73
	v_lshlrev_b32_sdwa v242, v81, v60 dst_sel:DWORD dst_unused:UNUSED_PAD src0_sel:DWORD src1_sel:WORD_0
	v_add_co_u32 v60, vcc_lo, 0xc30, v104
	v_add_co_ci_u32_e32 v61, vcc_lo, 0, v105, vcc_lo
	v_add_nc_u32_e32 v243, 0x400, v242
	ds_write2_b64 v242, v[56:57], v[58:59] offset1:100
	ds_write2_b64 v243, v[52:53], v[54:55] offset0:72 offset1:172
	v_add_co_u32 v52, vcc_lo, 0x800, v104
	v_add_co_ci_u32_e32 v53, vcc_lo, 0, v105, vcc_lo
	s_waitcnt lgkmcnt(0)
	s_barrier
	buffer_gl0_inv
	ds_read2_b64 v[80:83], v217 offset1:160
	ds_read2_b64 v[72:75], v228 offset1:160
	ds_read2_b64 v[56:59], v225 offset0:64 offset1:224
	ds_read2_b64 v[88:91], v222 offset0:64 offset1:224
	;; [unrolled: 1-line block ×3, first 2 shown]
	ds_read2_b64 v[68:71], v221 offset1:160
	ds_read2_b64 v[76:79], v224 offset0:64 offset1:224
	ds_read2_b64 v[92:95], v223 offset1:160
	ds_read2_b64 v[96:99], v227 offset1:160
	ds_read2_b64 v[100:103], v220 offset0:64 offset1:224
	s_clause 0x1
	global_load_dwordx4 v[52:55], v[52:53], off offset:1072
	global_load_dwordx2 v[188:189], v[60:61], off offset:16
	s_waitcnt vmcnt(1) lgkmcnt(8)
	v_mul_f32_e32 v60, v75, v53
	v_mul_f32_e32 v107, v74, v53
	s_waitcnt lgkmcnt(7)
	v_mul_f32_e32 v108, v56, v55
	s_waitcnt vmcnt(0) lgkmcnt(6)
	v_mul_f32_e32 v110, v90, v189
	v_fma_f32 v106, v74, v52, -v60
	v_mul_f32_e32 v60, v57, v55
	v_fmac_f32_e32 v107, v75, v52
	v_fmac_f32_e32 v108, v57, v54
	;; [unrolled: 1-line block ×3, first 2 shown]
	v_fma_f32 v75, v56, v54, -v60
	v_mul_f32_e32 v56, v91, v189
	v_sub_f32_e32 v75, v80, v75
	v_fma_f32 v109, v90, v188, -v56
	v_add_co_u32 v56, vcc_lo, 0x1b30, v104
	v_add_co_ci_u32_e32 v57, vcc_lo, 0, v105, vcc_lo
	v_add_co_u32 v60, vcc_lo, 0x1800, v104
	v_add_co_ci_u32_e32 v61, vcc_lo, 0, v105, vcc_lo
	s_clause 0x1
	global_load_dwordx4 v[60:63], v[60:61], off offset:816
	global_load_dwordx2 v[186:187], v[56:57], off offset:16
	v_cmp_gt_u16_e32 vcc_lo, 0x50, v85
	s_waitcnt vmcnt(1) lgkmcnt(5)
	v_mul_f32_e32 v56, v65, v61
	v_mul_f32_e32 v112, v64, v61
	;; [unrolled: 1-line block ×3, first 2 shown]
	s_waitcnt vmcnt(0) lgkmcnt(4)
	v_mul_f32_e32 v116, v68, v187
	v_fma_f32 v111, v64, v60, -v56
	v_mul_f32_e32 v56, v59, v63
	v_fmac_f32_e32 v112, v65, v60
	v_fmac_f32_e32 v114, v59, v62
	;; [unrolled: 1-line block ×3, first 2 shown]
	v_fma_f32 v113, v58, v62, -v56
	v_mul_f32_e32 v56, v69, v187
	v_fma_f32 v115, v68, v186, -v56
	v_add_nc_u32_e32 v56, 0xffffffb0, v216
	v_cndmask_b32_e32 v74, v56, v87, vcc_lo
	v_mul_i32_i24_e32 v57, 24, v74
	v_mul_hi_i32_i24_e32 v56, 24, v74
	v_add_co_u32 v57, vcc_lo, s10, v57
	v_add_co_ci_u32_e32 v58, vcc_lo, s11, v56, vcc_lo
	v_add_co_u32 v64, vcc_lo, 0xc30, v57
	v_add_co_ci_u32_e32 v65, vcc_lo, 0, v58, vcc_lo
	;; [unrolled: 2-line block ×3, first 2 shown]
	s_clause 0x1
	global_load_dwordx4 v[56:59], v[56:57], off offset:1072
	global_load_dwordx2 v[190:191], v[64:65], off offset:16
	v_add_co_u32 v68, vcc_lo, 0x13b0, v104
	v_add_co_ci_u32_e32 v69, vcc_lo, 0, v105, vcc_lo
	s_waitcnt vmcnt(1)
	v_mul_f32_e32 v64, v67, v57
	v_mul_f32_e32 v118, v66, v57
	s_waitcnt vmcnt(0)
	v_mul_f32_e32 v122, v70, v191
	s_waitcnt lgkmcnt(2)
	v_mul_f32_e32 v120, v92, v59
	v_fma_f32 v117, v66, v56, -v64
	v_mul_f32_e32 v64, v93, v59
	v_fmac_f32_e32 v118, v67, v56
	v_fmac_f32_e32 v122, v71, v190
	;; [unrolled: 1-line block ×3, first 2 shown]
	v_fma_f32 v119, v92, v58, -v64
	v_mul_f32_e32 v64, v71, v191
	v_sub_f32_e32 v92, v81, v108
	v_fma_f32 v121, v70, v190, -v64
	v_add_co_u32 v64, vcc_lo, 0x1000, v104
	v_add_co_ci_u32_e32 v65, vcc_lo, 0, v105, vcc_lo
	s_clause 0x1
	global_load_dwordx4 v[64:67], v[64:65], off offset:944
	global_load_dwordx2 v[192:193], v[68:69], off offset:16
	v_add_co_u32 v90, vcc_lo, 0x22b0, v104
	v_add_co_ci_u32_e32 v91, vcc_lo, 0, v105, vcc_lo
	s_waitcnt vmcnt(1) lgkmcnt(1)
	v_mul_f32_e32 v68, v97, v65
	v_mul_f32_e32 v124, v96, v65
	;; [unrolled: 1-line block ×3, first 2 shown]
	s_waitcnt vmcnt(0) lgkmcnt(0)
	v_mul_f32_e32 v128, v100, v193
	v_fma_f32 v123, v96, v64, -v68
	v_mul_f32_e32 v68, v95, v67
	v_fmac_f32_e32 v124, v97, v64
	v_fmac_f32_e32 v126, v95, v66
	;; [unrolled: 1-line block ×3, first 2 shown]
	v_sub_f32_e32 v95, v112, v116
	v_fma_f32 v125, v94, v66, -v68
	v_mul_f32_e32 v68, v101, v193
	v_sub_f32_e32 v101, v118, v122
	v_sub_f32_e32 v96, v111, v115
	v_fma_f32 v127, v100, v192, -v68
	v_add_co_u32 v68, vcc_lo, 0x2000, v104
	v_add_co_ci_u32_e32 v69, vcc_lo, 0, v105, vcc_lo
	s_clause 0x1
	global_load_dwordx4 v[68:71], v[68:69], off offset:688
	global_load_dwordx2 v[194:195], v[90:91], off offset:16
	v_sub_f32_e32 v90, v106, v109
	v_sub_f32_e32 v109, v78, v125
	;; [unrolled: 1-line block ×4, first 2 shown]
	v_cmp_lt_u16_e32 vcc_lo, 0x4f, v85
	v_add_co_u32 v85, s4, s10, v217
	v_fma_f32 v105, v78, 2.0, -v109
	v_fma_f32 v77, v77, 2.0, -v104
	s_waitcnt vmcnt(0)
	s_barrier
	buffer_gl0_inv
	v_mul_f32_e32 v87, v99, v69
	v_mul_f32_e32 v198, v88, v71
	;; [unrolled: 1-line block ×4, first 2 shown]
	v_fma_f32 v129, v98, v68, -v87
	v_mul_f32_e32 v87, v89, v71
	v_fmac_f32_e32 v198, v89, v70
	v_sub_f32_e32 v89, v107, v110
	v_sub_f32_e32 v110, v79, v126
	v_fmac_f32_e32 v196, v99, v68
	v_fma_f32 v197, v88, v70, -v87
	v_fma_f32 v88, v81, 2.0, -v92
	v_fma_f32 v81, v107, 2.0, -v89
	v_sub_f32_e32 v107, v124, v128
	v_mul_f32_e32 v87, v103, v195
	v_sub_f32_e32 v89, v75, v89
	v_fma_f32 v79, v79, 2.0, -v110
	v_fmac_f32_e32 v200, v103, v194
	v_fma_f32 v78, v124, 2.0, -v107
	v_fma_f32 v199, v102, v194, -v87
	v_fma_f32 v87, v80, 2.0, -v75
	v_fma_f32 v91, v75, 2.0, -v89
	v_sub_f32_e32 v75, v82, v113
	v_sub_f32_e32 v98, v83, v114
	;; [unrolled: 1-line block ×4, first 2 shown]
	v_fma_f32 v80, v106, 2.0, -v90
	v_sub_f32_e32 v102, v117, v121
	v_fma_f32 v94, v83, 2.0, -v98
	v_fma_f32 v83, v112, 2.0, -v95
	v_sub_f32_e32 v95, v75, v95
	v_fma_f32 v99, v76, 2.0, -v103
	v_fma_f32 v76, v118, 2.0, -v101
	;; [unrolled: 1-line block ×3, first 2 shown]
	v_sub_f32_e32 v79, v72, v197
	v_sub_f32_e32 v116, v73, v198
	;; [unrolled: 1-line block ×3, first 2 shown]
	v_fma_f32 v93, v82, 2.0, -v75
	v_fma_f32 v97, v75, 2.0, -v95
	;; [unrolled: 1-line block ×3, first 2 shown]
	v_sub_f32_e32 v76, v77, v76
	v_fma_f32 v112, v73, 2.0, -v116
	v_sub_f32_e32 v114, v129, v199
	v_fma_f32 v73, v196, 2.0, -v113
	;; [unrolled: 2-line block ×3, first 2 shown]
	v_add_f32_e32 v90, v92, v90
	v_sub_f32_e32 v75, v99, v75
	v_fma_f32 v100, v77, 2.0, -v76
	v_fma_f32 v77, v123, 2.0, -v108
	v_sub_f32_e32 v107, v109, v107
	v_add_f32_e32 v108, v110, v108
	v_fma_f32 v111, v72, 2.0, -v79
	v_fma_f32 v72, v129, 2.0, -v114
	v_add_f32_e32 v114, v116, v114
	v_fma_f32 v115, v79, 2.0, -v113
	v_cndmask_b32_e64 v79, 0, 0x640, vcc_lo
	v_sub_f32_e32 v101, v103, v101
	v_add_f32_e32 v102, v104, v102
	v_sub_f32_e32 v80, v87, v80
	v_sub_f32_e32 v81, v88, v81
	;; [unrolled: 1-line block ×4, first 2 shown]
	v_add_f32_e32 v96, v98, v96
	v_fma_f32 v92, v92, 2.0, -v90
	v_fma_f32 v99, v99, 2.0, -v75
	;; [unrolled: 1-line block ×5, first 2 shown]
	v_add_lshl_u32 v244, v74, v79, 3
	v_fma_f32 v103, v103, 2.0, -v101
	v_fma_f32 v104, v104, 2.0, -v102
	v_sub_f32_e32 v77, v105, v77
	v_sub_f32_e32 v72, v111, v72
	;; [unrolled: 1-line block ×3, first 2 shown]
	v_add_co_ci_u32_e64 v117, null, s11, 0, s4
	v_fma_f32 v87, v87, 2.0, -v80
	v_fma_f32 v88, v88, 2.0, -v81
	;; [unrolled: 1-line block ×5, first 2 shown]
	ds_write_b64 v217, v[91:92] offset:3200
	ds_write_b64 v217, v[80:81] offset:6400
	;; [unrolled: 1-line block ×3, first 2 shown]
	ds_write2_b64 v217, v[87:88], v[93:94] offset1:160
	ds_write_b64 v217, v[97:98] offset:4480
	ds_write_b64 v217, v[82:83] offset:7680
	;; [unrolled: 1-line block ×3, first 2 shown]
	ds_write_b64 v244, v[99:100]
	ds_write_b64 v244, v[103:104] offset:3200
	ds_write_b64 v244, v[75:76] offset:6400
	;; [unrolled: 1-line block ×3, first 2 shown]
	ds_write2_b64 v233, v[109:110], v[115:116] offset0:32 offset1:192
	v_add_co_u32 v115, vcc_lo, 0x3000, v85
	v_fma_f32 v105, v105, 2.0, -v77
	v_fma_f32 v111, v111, 2.0, -v72
	;; [unrolled: 1-line block ×3, first 2 shown]
	v_add_co_ci_u32_e32 v116, vcc_lo, 0, v117, vcc_lo
	ds_write2_b64 v245, v[105:106], v[111:112] offset0:16 offset1:176
	ds_write2_b64 v246, v[77:78], v[72:73] offset0:48 offset1:208
	;; [unrolled: 1-line block ×3, first 2 shown]
	s_waitcnt lgkmcnt(0)
	s_barrier
	buffer_gl0_inv
	ds_read2_b64 v[72:75], v217 offset1:160
	ds_read2_b64 v[76:79], v225 offset0:64 offset1:224
	ds_read2_b64 v[80:83], v224 offset0:64 offset1:224
	ds_read2_b64 v[87:90], v223 offset1:160
	ds_read2_b64 v[91:94], v228 offset1:160
	ds_read2_b64 v[95:98], v222 offset0:64 offset1:224
	ds_read2_b64 v[99:102], v226 offset0:64 offset1:224
	ds_read2_b64 v[103:106], v221 offset1:160
	ds_read2_b64 v[107:110], v227 offset1:160
	ds_read2_b64 v[111:114], v220 offset0:64 offset1:224
	s_clause 0x1
	global_load_dwordx2 v[196:197], v[115:116], off offset:432
	global_load_dwordx2 v[198:199], v[115:116], off offset:1712
	s_waitcnt vmcnt(1) lgkmcnt(8)
	v_mul_f32_e32 v118, v77, v197
	v_mul_f32_e32 v119, v76, v197
	s_waitcnt vmcnt(0)
	v_mul_f32_e32 v116, v78, v199
	v_fma_f32 v118, v76, v196, -v118
	v_mul_f32_e32 v76, v79, v199
	v_fmac_f32_e32 v119, v77, v196
	v_fmac_f32_e32 v116, v79, v198
	v_fma_f32 v115, v78, v198, -v76
	v_add_co_u32 v76, vcc_lo, 0x3800, v85
	v_add_co_ci_u32_e32 v77, vcc_lo, 0, v117, vcc_lo
	v_sub_f32_e32 v79, v75, v116
	global_load_dwordx2 v[200:201], v[76:77], off offset:944
	v_fma_f32 v75, v75, 2.0, -v79
	s_waitcnt vmcnt(0) lgkmcnt(6)
	v_mul_f32_e32 v76, v88, v201
	v_mul_f32_e32 v121, v87, v201
	v_fma_f32 v120, v87, v200, -v76
	v_add_co_u32 v76, vcc_lo, 0x4000, v85
	v_add_co_ci_u32_e32 v77, vcc_lo, 0, v117, vcc_lo
	v_fmac_f32_e32 v121, v88, v200
	v_sub_f32_e32 v87, v80, v120
	s_clause 0x1
	global_load_dwordx2 v[202:203], v[76:77], off offset:176
	global_load_dwordx2 v[204:205], v[76:77], off offset:1456
	v_sub_f32_e32 v88, v81, v121
	v_fma_f32 v80, v80, 2.0, -v87
	v_fma_f32 v81, v81, 2.0, -v88
	s_waitcnt vmcnt(1)
	v_mul_f32_e32 v78, v90, v203
	s_waitcnt vmcnt(0) lgkmcnt(4)
	v_mul_f32_e32 v76, v96, v205
	v_mul_f32_e32 v123, v89, v203
	;; [unrolled: 1-line block ×3, first 2 shown]
	v_fma_f32 v122, v89, v202, -v78
	v_fma_f32 v124, v95, v204, -v76
	v_add_co_u32 v76, vcc_lo, 0x4800, v85
	v_add_co_ci_u32_e32 v77, vcc_lo, 0, v117, vcc_lo
	v_fmac_f32_e32 v123, v90, v202
	v_fmac_f32_e32 v125, v96, v204
	v_sub_f32_e32 v89, v82, v122
	s_clause 0x1
	global_load_dwordx2 v[206:207], v[76:77], off offset:688
	global_load_dwordx2 v[208:209], v[76:77], off offset:1968
	v_sub_f32_e32 v90, v83, v123
	v_sub_f32_e32 v95, v91, v124
	;; [unrolled: 1-line block ×3, first 2 shown]
	v_fma_f32 v82, v82, 2.0, -v89
	v_fma_f32 v83, v83, 2.0, -v90
	;; [unrolled: 1-line block ×4, first 2 shown]
	s_waitcnt vmcnt(1)
	v_mul_f32_e32 v78, v98, v207
	s_waitcnt vmcnt(0) lgkmcnt(2)
	v_mul_f32_e32 v76, v104, v209
	v_mul_f32_e32 v129, v103, v209
	;; [unrolled: 1-line block ×3, first 2 shown]
	v_fma_f32 v126, v97, v206, -v78
	v_fma_f32 v128, v103, v208, -v76
	v_add_co_u32 v76, vcc_lo, 0x5000, v85
	v_add_co_ci_u32_e32 v77, vcc_lo, 0, v117, vcc_lo
	v_fmac_f32_e32 v129, v104, v208
	v_fmac_f32_e32 v127, v98, v206
	v_sub_f32_e32 v103, v99, v128
	global_load_dwordx2 v[210:211], v[76:77], off offset:1200
	v_sub_f32_e32 v97, v93, v126
	v_sub_f32_e32 v104, v100, v129
	;; [unrolled: 1-line block ×3, first 2 shown]
	v_fma_f32 v99, v99, 2.0, -v103
	v_fma_f32 v93, v93, 2.0, -v97
	;; [unrolled: 1-line block ×4, first 2 shown]
	s_waitcnt vmcnt(0)
	v_mul_f32_e32 v76, v106, v211
	v_mul_f32_e32 v248, v105, v211
	v_fma_f32 v247, v105, v210, -v76
	v_add_co_u32 v76, vcc_lo, 0x5800, v85
	v_add_co_ci_u32_e32 v77, vcc_lo, 0, v117, vcc_lo
	v_fmac_f32_e32 v248, v106, v210
	v_sub_f32_e32 v105, v101, v247
	v_add_nc_u32_e32 v247, 0x5400, v217
	s_clause 0x1
	global_load_dwordx2 v[212:213], v[76:77], off offset:432
	global_load_dwordx2 v[214:215], v[76:77], off offset:1712
	v_sub_f32_e32 v77, v73, v119
	v_sub_f32_e32 v106, v102, v248
	v_add_nc_u32_e32 v248, 0x4a00, v217
	v_fma_f32 v101, v101, 2.0, -v105
	v_fma_f32 v73, v73, 2.0, -v77
	;; [unrolled: 1-line block ×3, first 2 shown]
	s_waitcnt vmcnt(1) lgkmcnt(0)
	v_mul_f32_e32 v78, v112, v213
	v_mul_f32_e32 v117, v111, v213
	s_waitcnt vmcnt(0)
	v_mul_f32_e32 v76, v114, v215
	v_mul_f32_e32 v250, v113, v215
	v_fma_f32 v85, v111, v212, -v78
	v_fmac_f32_e32 v117, v112, v212
	v_fma_f32 v249, v113, v214, -v76
	v_fmac_f32_e32 v250, v114, v214
	v_sub_f32_e32 v76, v72, v118
	v_sub_f32_e32 v78, v74, v115
	;; [unrolled: 1-line block ×6, first 2 shown]
	v_add_nc_u32_e32 v249, 0x3600, v217
	v_fma_f32 v72, v72, 2.0, -v76
	v_fma_f32 v74, v74, 2.0, -v78
	;; [unrolled: 1-line block ×6, first 2 shown]
	ds_write_b64 v217, v[76:77] offset:12800
	ds_write2_b64 v217, v[72:73], v[74:75] offset1:160
	ds_write2_b64 v249, v[78:79], v[87:88] offset0:32 offset1:192
	ds_write2_b64 v224, v[80:81], v[82:83] offset0:64 offset1:224
	;; [unrolled: 1-line block ×3, first 2 shown]
	ds_write2_b64 v228, v[91:92], v[93:94] offset1:160
	ds_write2_b64 v248, v[97:98], v[103:104] offset0:32 offset1:192
	ds_write2_b64 v226, v[99:100], v[101:102] offset0:64 offset1:224
	;; [unrolled: 1-line block ×3, first 2 shown]
	ds_write2_b64 v227, v[107:108], v[109:110] offset1:160
	ds_write_b64 v217, v[113:114] offset:24320
	s_waitcnt lgkmcnt(0)
	s_barrier
	buffer_gl0_inv
	global_load_dwordx2 v[72:73], v217, s[2:3]
	ds_read2_b64 v[100:103], v217 offset1:160
	v_add_co_u32 v98, s4, s2, v217
	v_add_co_ci_u32_e64 v99, null, s3, 0, s4
	s_mul_i32 s4, s1, 0xa00
	s_add_i32 s4, s5, s4
	s_mul_i32 s5, s0, 0xa00
	s_waitcnt vmcnt(0) lgkmcnt(0)
	v_mul_f32_e32 v74, v101, v73
	v_mul_f32_e32 v75, v100, v73
	v_fma_f32 v74, v100, v72, -v74
	v_add_co_u32 v100, vcc_lo, 0x800, v98
	v_fmac_f32_e32 v75, v101, v72
	v_add_co_ci_u32_e32 v101, vcc_lo, 0, v99, vcc_lo
	ds_write_b64 v217, v[74:75]
	global_load_dwordx2 v[72:73], v[100:101], off offset:512
	ds_read2_b64 v[104:107], v224 offset0:64 offset1:224
	ds_read2_b64 v[108:111], v228 offset1:160
	ds_read2_b64 v[112:115], v226 offset0:64 offset1:224
	ds_read2_b64 v[116:119], v227 offset1:160
	ds_read2_b64 v[78:81], v225 offset0:64 offset1:224
	s_waitcnt vmcnt(0) lgkmcnt(4)
	v_mul_f32_e32 v74, v105, v73
	v_mul_f32_e32 v121, v104, v73
	v_fma_f32 v120, v104, v72, -v74
	v_fmac_f32_e32 v121, v105, v72
	v_add_co_u32 v72, vcc_lo, 0x1000, v98
	v_add_co_ci_u32_e32 v73, vcc_lo, 0, v99, vcc_lo
	global_load_dwordx2 v[72:73], v[72:73], off offset:1024
	s_waitcnt vmcnt(0) lgkmcnt(3)
	v_mul_f32_e32 v74, v109, v73
	v_mul_f32_e32 v105, v108, v73
	v_fma_f32 v104, v108, v72, -v74
	v_add_co_u32 v108, vcc_lo, 0x1800, v98
	v_fmac_f32_e32 v105, v109, v72
	v_add_co_ci_u32_e32 v109, vcc_lo, 0, v99, vcc_lo
	v_add_co_u32 v88, vcc_lo, 0x3000, v98
	v_add_co_ci_u32_e32 v89, vcc_lo, 0, v99, vcc_lo
	global_load_dwordx2 v[72:73], v[108:109], off offset:1536
	s_waitcnt vmcnt(0) lgkmcnt(2)
	v_mul_f32_e32 v74, v113, v73
	v_mul_f32_e32 v123, v112, v73
	v_fma_f32 v122, v112, v72, -v74
	v_fmac_f32_e32 v123, v113, v72
	global_load_dwordx2 v[72:73], v84, s[2:3]
	ds_read2_b64 v[82:85], v223 offset1:160
	s_waitcnt vmcnt(0) lgkmcnt(2)
	v_mul_f32_e32 v74, v117, v73
	v_mul_f32_e32 v113, v116, v73
	v_fma_f32 v112, v116, v72, -v74
	v_fmac_f32_e32 v113, v117, v72
	global_load_dwordx2 v[72:73], v[88:89], off offset:512
	s_waitcnt vmcnt(0) lgkmcnt(1)
	v_mul_f32_e32 v74, v79, v73
	v_mul_f32_e32 v117, v78, v73
	v_fma_f32 v116, v78, v72, -v74
	v_fmac_f32_e32 v117, v79, v72
	v_add_co_u32 v72, vcc_lo, 0x3800, v98
	v_add_co_ci_u32_e32 v73, vcc_lo, 0, v99, vcc_lo
	v_add_co_u32 v96, vcc_lo, 0x4000, v98
	v_add_co_ci_u32_e32 v97, vcc_lo, 0, v99, vcc_lo
	global_load_dwordx2 v[72:73], v[72:73], off offset:1024
	ds_read2_b64 v[76:79], v222 offset0:64 offset1:224
	s_waitcnt vmcnt(0) lgkmcnt(1)
	v_mul_f32_e32 v74, v83, v73
	v_mul_f32_e32 v91, v82, v73
	v_fma_f32 v90, v82, v72, -v74
	v_fmac_f32_e32 v91, v83, v72
	global_load_dwordx2 v[72:73], v[96:97], off offset:1536
	s_waitcnt vmcnt(0) lgkmcnt(0)
	v_mul_f32_e32 v74, v77, v73
	v_mul_f32_e32 v95, v76, v73
	v_fma_f32 v94, v76, v72, -v74
	v_fmac_f32_e32 v95, v77, v72
	global_load_dwordx2 v[72:73], v86, s[2:3]
	ds_read2_b64 v[74:77], v221 offset1:160
	s_waitcnt vmcnt(0) lgkmcnt(0)
	v_mul_f32_e32 v82, v75, v73
	v_mul_f32_e32 v93, v74, v73
	v_fma_f32 v92, v74, v72, -v82
	v_add_co_u32 v82, vcc_lo, 0x5800, v98
	v_add_co_ci_u32_e32 v83, vcc_lo, 0, v99, vcc_lo
	v_fmac_f32_e32 v93, v75, v72
	ds_read2_b64 v[72:75], v220 offset0:64 offset1:224
	global_load_dwordx2 v[124:125], v[82:83], off offset:512
	s_waitcnt vmcnt(0) lgkmcnt(0)
	v_mul_f32_e32 v86, v73, v125
	v_mul_f32_e32 v87, v72, v125
	v_fma_f32 v86, v72, v124, -v86
	v_fmac_f32_e32 v87, v73, v124
	global_load_dwordx2 v[72:73], v217, s[2:3] offset:1280
	s_mov_b32 s2, 0x47ae147b
	s_mov_b32 s3, 0x3f347ae1
	s_waitcnt vmcnt(0)
	v_mul_f32_e32 v124, v103, v73
	v_mul_f32_e32 v125, v102, v73
	v_fma_f32 v124, v102, v72, -v124
	v_fmac_f32_e32 v125, v103, v72
	v_add_nc_u32_e32 v72, 0x400, v217
	ds_write2_b64 v72, v[124:125], v[120:121] offset0:32 offset1:192
	global_load_dwordx2 v[72:73], v[100:101], off offset:1792
	s_waitcnt vmcnt(0)
	v_mul_f32_e32 v100, v107, v73
	v_mul_f32_e32 v101, v106, v73
	v_fma_f32 v100, v106, v72, -v100
	v_fmac_f32_e32 v101, v107, v72
	v_add_nc_u32_e32 v72, 0xe00, v217
	ds_write2_b64 v72, v[100:101], v[104:105] offset0:32 offset1:192
	global_load_dwordx2 v[72:73], v[108:109], off offset:256
	s_waitcnt vmcnt(0)
	v_mul_f32_e32 v100, v111, v73
	v_mul_f32_e32 v101, v110, v73
	v_fma_f32 v100, v110, v72, -v100
	v_fmac_f32_e32 v101, v111, v72
	v_add_nc_u32_e32 v72, 0x1800, v217
	ds_write2_b64 v72, v[100:101], v[122:123] offset0:32 offset1:192
	v_add_co_u32 v72, vcc_lo, 0x2000, v98
	v_add_co_ci_u32_e32 v73, vcc_lo, 0, v99, vcc_lo
	global_load_dwordx2 v[72:73], v[72:73], off offset:768
	s_waitcnt vmcnt(0)
	v_mul_f32_e32 v100, v115, v73
	v_mul_f32_e32 v101, v114, v73
	v_fma_f32 v100, v114, v72, -v100
	v_fmac_f32_e32 v101, v115, v72
	v_add_nc_u32_e32 v72, 0x2200, v217
	ds_write2_b64 v72, v[100:101], v[112:113] offset0:32 offset1:192
	v_add_co_u32 v72, vcc_lo, 0x2800, v98
	v_add_co_ci_u32_e32 v73, vcc_lo, 0, v99, vcc_lo
	global_load_dwordx2 v[72:73], v[72:73], off offset:1280
	s_waitcnt vmcnt(0)
	v_mul_f32_e32 v100, v119, v73
	v_mul_f32_e32 v101, v118, v73
	v_fma_f32 v100, v118, v72, -v100
	v_fmac_f32_e32 v101, v119, v72
	v_add_nc_u32_e32 v72, 0x2c00, v217
	ds_write2_b64 v72, v[100:101], v[116:117] offset0:32 offset1:192
	global_load_dwordx2 v[72:73], v[88:89], off offset:1792
	s_waitcnt vmcnt(0)
	v_mul_f32_e32 v88, v81, v73
	v_mul_f32_e32 v89, v80, v73
	v_fma_f32 v88, v80, v72, -v88
	v_fmac_f32_e32 v89, v81, v72
	global_load_dwordx2 v[72:73], v[96:97], off offset:256
	ds_write2_b64 v249, v[88:89], v[90:91] offset0:32 offset1:192
	s_waitcnt vmcnt(0)
	v_mul_f32_e32 v80, v85, v73
	v_mul_f32_e32 v81, v84, v73
	v_fma_f32 v80, v84, v72, -v80
	v_fmac_f32_e32 v81, v85, v72
	v_add_co_u32 v72, vcc_lo, 0x4800, v98
	v_add_co_ci_u32_e32 v73, vcc_lo, 0, v99, vcc_lo
	ds_write2_b64 v233, v[80:81], v[94:95] offset0:32 offset1:192
	global_load_dwordx2 v[72:73], v[72:73], off offset:768
	s_waitcnt vmcnt(0)
	v_mul_f32_e32 v80, v79, v73
	v_mul_f32_e32 v81, v78, v73
	v_fma_f32 v80, v78, v72, -v80
	v_fmac_f32_e32 v81, v79, v72
	v_add_co_u32 v72, vcc_lo, 0x5000, v98
	v_add_co_ci_u32_e32 v73, vcc_lo, 0, v99, vcc_lo
	ds_write2_b64 v248, v[80:81], v[92:93] offset0:32 offset1:192
	global_load_dwordx2 v[72:73], v[72:73], off offset:1280
	s_waitcnt vmcnt(0)
	v_mul_f32_e32 v78, v77, v73
	v_mul_f32_e32 v79, v76, v73
	v_fma_f32 v78, v76, v72, -v78
	v_fmac_f32_e32 v79, v77, v72
	global_load_dwordx2 v[72:73], v[82:83], off offset:1792
	ds_write2_b64 v247, v[78:79], v[86:87] offset0:32 offset1:192
	s_waitcnt vmcnt(0)
	v_mul_f32_e32 v76, v75, v73
	v_mul_f32_e32 v77, v74, v73
	v_fma_f32 v76, v74, v72, -v76
	v_fmac_f32_e32 v77, v75, v72
	ds_write_b64 v217, v[76:77] offset:24320
	s_waitcnt lgkmcnt(0)
	s_barrier
	buffer_gl0_inv
	ds_read2_b64 v[72:75], v217 offset1:160
	ds_read2_b64 v[76:79], v224 offset0:64 offset1:224
	ds_read2_b64 v[114:117], v228 offset1:160
	ds_read2_b64 v[80:83], v226 offset0:64 offset1:224
	;; [unrolled: 2-line block ×5, first 2 shown]
	s_waitcnt lgkmcnt(0)
	s_barrier
	buffer_gl0_inv
	v_add_f32_e32 v88, v72, v114
	v_sub_f32_e32 v96, v114, v118
	v_sub_f32_e32 v98, v80, v84
	;; [unrolled: 1-line block ×3, first 2 shown]
	v_add_f32_e32 v88, v88, v118
	v_sub_f32_e32 v97, v126, v122
	v_sub_f32_e32 v99, v110, v90
	;; [unrolled: 1-line block ×3, first 2 shown]
	v_add_f32_e32 v88, v88, v122
	v_add_f32_e32 v96, v96, v97
	v_sub_f32_e32 v97, v122, v126
	v_add_f32_e32 v98, v98, v99
	v_add_f32_e32 v95, v88, v126
	v_add_f32_e32 v88, v118, v122
	v_fma_f32 v94, -0.5, v88, v72
	v_sub_f32_e32 v88, v115, v127
	v_fmamk_f32 v100, v88, 0xbf737871, v94
	v_fmac_f32_e32 v94, 0x3f737871, v88
	v_fmac_f32_e32 v100, 0xbf167918, v89
	;; [unrolled: 1-line block ×5, first 2 shown]
	v_add_f32_e32 v96, v114, v126
	v_fma_f32 v72, -0.5, v96, v72
	v_sub_f32_e32 v96, v118, v114
	v_fmamk_f32 v101, v89, 0x3f737871, v72
	v_fmac_f32_e32 v72, 0xbf737871, v89
	v_add_f32_e32 v96, v96, v97
	v_sub_f32_e32 v89, v118, v122
	v_sub_f32_e32 v97, v127, v123
	v_fmac_f32_e32 v101, 0xbf167918, v88
	v_fmac_f32_e32 v72, 0x3f167918, v88
	v_add_f32_e32 v88, v73, v115
	v_fmac_f32_e32 v101, 0x3e9e377a, v96
	v_fmac_f32_e32 v72, 0x3e9e377a, v96
	v_add_f32_e32 v88, v88, v119
	v_sub_f32_e32 v96, v115, v119
	v_add_f32_e32 v88, v88, v123
	v_add_f32_e32 v96, v96, v97
	v_sub_f32_e32 v97, v123, v127
	v_add_f32_e32 v105, v88, v127
	v_add_f32_e32 v88, v119, v123
	v_fma_f32 v103, -0.5, v88, v73
	v_sub_f32_e32 v88, v114, v126
	v_fmamk_f32 v107, v88, 0x3f737871, v103
	v_fmac_f32_e32 v103, 0xbf737871, v88
	v_fmac_f32_e32 v107, 0x3f167918, v89
	;; [unrolled: 1-line block ×5, first 2 shown]
	v_add_f32_e32 v96, v115, v127
	v_fma_f32 v73, -0.5, v96, v73
	v_sub_f32_e32 v96, v119, v115
	v_fmamk_f32 v114, v89, 0xbf737871, v73
	v_fmac_f32_e32 v73, 0x3f737871, v89
	v_add_f32_e32 v96, v96, v97
	v_fmac_f32_e32 v114, 0x3f167918, v88
	v_fmac_f32_e32 v73, 0xbf167918, v88
	v_add_f32_e32 v88, v76, v80
	v_fmac_f32_e32 v114, 0x3e9e377a, v96
	v_fmac_f32_e32 v73, 0x3e9e377a, v96
	v_add_f32_e32 v88, v88, v84
	v_sub_f32_e32 v96, v85, v91
	v_add_f32_e32 v88, v88, v90
	v_add_f32_e32 v102, v88, v110
	;; [unrolled: 1-line block ×4, first 2 shown]
	v_fma_f32 v89, -0.5, v88, v76
	v_sub_f32_e32 v88, v81, v111
	v_fmamk_f32 v97, v88, 0xbf737871, v89
	v_fmac_f32_e32 v89, 0x3f737871, v88
	v_fmac_f32_e32 v97, 0xbf167918, v96
	;; [unrolled: 1-line block ×5, first 2 shown]
	v_add_f32_e32 v98, v80, v110
	v_mul_f32_e32 v118, 0x3f167918, v97
	v_fma_f32 v76, -0.5, v98, v76
	v_sub_f32_e32 v98, v84, v80
	v_sub_f32_e32 v80, v80, v110
	;; [unrolled: 1-line block ×4, first 2 shown]
	v_fmamk_f32 v99, v96, 0x3f737871, v76
	v_fmac_f32_e32 v76, 0xbf737871, v96
	v_add_f32_e32 v98, v98, v104
	v_fmac_f32_e32 v99, 0xbf167918, v88
	v_fmac_f32_e32 v76, 0x3f167918, v88
	v_add_f32_e32 v88, v77, v81
	v_fmac_f32_e32 v99, 0x3e9e377a, v98
	v_fmac_f32_e32 v76, 0x3e9e377a, v98
	v_add_f32_e32 v88, v88, v85
	v_add_f32_e32 v88, v88, v91
	;; [unrolled: 1-line block ×5, first 2 shown]
	v_fma_f32 v104, -0.5, v88, v77
	v_sub_f32_e32 v88, v81, v85
	v_fmamk_f32 v106, v80, 0x3f737871, v104
	v_fmac_f32_e32 v104, 0xbf737871, v80
	v_add_f32_e32 v88, v88, v90
	v_fmac_f32_e32 v106, 0x3f167918, v84
	v_fmac_f32_e32 v104, 0xbf167918, v84
	;; [unrolled: 1-line block ×4, first 2 shown]
	v_add_f32_e32 v88, v81, v111
	v_sub_f32_e32 v81, v85, v81
	v_sub_f32_e32 v85, v91, v111
	v_fmac_f32_e32 v118, 0x3f4f1bbd, v106
	v_sub_f32_e32 v91, v105, v115
	v_fma_f32 v77, -0.5, v88, v77
	v_add_f32_e32 v81, v81, v85
	v_mul_f32_e32 v85, 0xbf167918, v104
	v_add_f32_e32 v111, v107, v118
	v_fmamk_f32 v90, v84, 0xbf737871, v77
	v_fmac_f32_e32 v77, 0x3f737871, v84
	v_sub_f32_e32 v105, v107, v118
	v_fmac_f32_e32 v85, 0xbf4f1bbd, v89
	v_fmac_f32_e32 v90, 0x3f167918, v80
	;; [unrolled: 1-line block ×3, first 2 shown]
	v_mul_f32_e32 v80, 0xbf167918, v106
	v_add_f32_e32 v88, v94, v85
	v_fmac_f32_e32 v90, 0x3e9e377a, v81
	v_fmac_f32_e32 v77, 0x3e9e377a, v81
	v_fmac_f32_e32 v80, 0x3f4f1bbd, v97
	v_mul_f32_e32 v81, 0xbf737871, v90
	v_mul_f32_e32 v84, 0xbf737871, v77
	;; [unrolled: 1-line block ×4, first 2 shown]
	v_add_f32_e32 v110, v100, v80
	v_fmac_f32_e32 v81, 0x3e9e377a, v99
	v_fmac_f32_e32 v84, 0xbe9e377a, v76
	v_fmac_f32_e32 v77, 0x3f737871, v76
	v_mul_f32_e32 v76, 0xbf4f1bbd, v104
	v_fmac_f32_e32 v119, 0x3f737871, v99
	v_add_f32_e32 v96, v101, v81
	v_sub_f32_e32 v106, v101, v81
	v_add_f32_e32 v99, v73, v77
	v_fmac_f32_e32 v76, 0x3f167918, v89
	v_sub_f32_e32 v101, v73, v77
	v_add_f32_e32 v73, v120, v124
	v_add_f32_e32 v98, v72, v84
	v_sub_f32_e32 v104, v100, v80
	v_add_f32_e32 v89, v103, v76
	v_sub_f32_e32 v103, v103, v76
	v_fma_f32 v73, -0.5, v73, v74
	v_sub_f32_e32 v76, v117, v129
	v_sub_f32_e32 v100, v72, v84
	;; [unrolled: 1-line block ×5, first 2 shown]
	v_fmamk_f32 v77, v76, 0xbf737871, v73
	v_fmac_f32_e32 v73, 0x3f737871, v76
	v_add_f32_e32 v72, v74, v116
	v_add_f32_e32 v97, v114, v119
	;; [unrolled: 1-line block ×3, first 2 shown]
	v_fmac_f32_e32 v77, 0xbf167918, v80
	v_fmac_f32_e32 v73, 0x3f167918, v80
	v_sub_f32_e32 v107, v114, v119
	v_sub_f32_e32 v84, v124, v128
	v_sub_f32_e32 v90, v95, v102
	v_fmac_f32_e32 v77, 0x3e9e377a, v81
	v_fmac_f32_e32 v73, 0x3e9e377a, v81
	v_add_f32_e32 v81, v116, v128
	v_sub_f32_e32 v102, v94, v85
	v_sub_f32_e32 v94, v82, v86
	;; [unrolled: 1-line block ×3, first 2 shown]
	v_add_f32_e32 v72, v72, v120
	v_fma_f32 v74, -0.5, v81, v74
	v_sub_f32_e32 v81, v120, v116
	v_add_f32_e32 v94, v94, v95
	v_sub_f32_e32 v95, v92, v112
	v_fmamk_f32 v114, v80, 0x3f737871, v74
	v_fmac_f32_e32 v74, 0xbf737871, v80
	v_add_f32_e32 v81, v81, v84
	v_sub_f32_e32 v80, v120, v124
	v_sub_f32_e32 v84, v129, v125
	v_fmac_f32_e32 v114, 0xbf167918, v76
	v_fmac_f32_e32 v74, 0x3f167918, v76
	v_add_f32_e32 v76, v75, v117
	v_add_f32_e32 v72, v72, v124
	v_fmac_f32_e32 v114, 0x3e9e377a, v81
	v_fmac_f32_e32 v74, 0x3e9e377a, v81
	v_add_f32_e32 v76, v76, v121
	v_sub_f32_e32 v81, v117, v121
	v_add_f32_e32 v72, v72, v128
	v_add_f32_e32 v76, v76, v125
	;; [unrolled: 1-line block ×3, first 2 shown]
	v_sub_f32_e32 v84, v125, v129
	v_add_f32_e32 v115, v76, v129
	v_add_f32_e32 v76, v121, v125
	v_fma_f32 v118, -0.5, v76, v75
	v_sub_f32_e32 v76, v116, v128
	v_fmamk_f32 v116, v76, 0x3f737871, v118
	v_fmac_f32_e32 v118, 0xbf737871, v76
	v_fmac_f32_e32 v116, 0x3f167918, v80
	;; [unrolled: 1-line block ×5, first 2 shown]
	v_add_f32_e32 v81, v117, v129
	v_fmac_f32_e32 v75, -0.5, v81
	v_sub_f32_e32 v81, v121, v117
	v_fmamk_f32 v119, v80, 0xbf737871, v75
	v_fmac_f32_e32 v75, 0x3f737871, v80
	v_add_f32_e32 v81, v81, v84
	v_add_f32_e32 v80, v86, v92
	v_sub_f32_e32 v84, v87, v93
	v_fmac_f32_e32 v119, 0x3f167918, v76
	v_fmac_f32_e32 v75, 0xbf167918, v76
	v_add_f32_e32 v76, v78, v82
	v_fmac_f32_e32 v119, 0x3e9e377a, v81
	v_fmac_f32_e32 v75, 0x3e9e377a, v81
	v_fma_f32 v81, -0.5, v80, v78
	v_sub_f32_e32 v80, v83, v113
	v_add_f32_e32 v76, v76, v86
	v_fmamk_f32 v85, v80, 0xbf737871, v81
	v_fmac_f32_e32 v81, 0x3f737871, v80
	v_add_f32_e32 v76, v76, v92
	v_fmac_f32_e32 v85, 0xbf167918, v84
	v_fmac_f32_e32 v81, 0x3f167918, v84
	v_add_f32_e32 v76, v76, v112
	v_fmac_f32_e32 v85, 0x3e9e377a, v94
	v_fmac_f32_e32 v81, 0x3e9e377a, v94
	v_add_f32_e32 v94, v82, v112
	v_mul_f32_e32 v124, 0x3f167918, v85
	v_fma_f32 v78, -0.5, v94, v78
	v_sub_f32_e32 v94, v86, v82
	v_fmamk_f32 v117, v84, 0x3f737871, v78
	v_fmac_f32_e32 v78, 0xbf737871, v84
	v_sub_f32_e32 v84, v86, v92
	v_sub_f32_e32 v86, v83, v87
	;; [unrolled: 1-line block ×3, first 2 shown]
	v_fmac_f32_e32 v117, 0xbf167918, v80
	v_fmac_f32_e32 v78, 0x3f167918, v80
	v_add_f32_e32 v80, v79, v83
	v_add_f32_e32 v94, v94, v95
	;; [unrolled: 1-line block ×5, first 2 shown]
	v_fmac_f32_e32 v117, 0x3e9e377a, v94
	v_fmac_f32_e32 v78, 0x3e9e377a, v94
	v_add_f32_e32 v80, v80, v93
	v_add_f32_e32 v120, v80, v113
	;; [unrolled: 1-line block ×3, first 2 shown]
	v_fma_f32 v121, -0.5, v80, v79
	v_sub_f32_e32 v80, v82, v112
	v_fmamk_f32 v82, v80, 0x3f737871, v121
	v_fmac_f32_e32 v121, 0xbf737871, v80
	v_fmac_f32_e32 v82, 0x3f167918, v84
	;; [unrolled: 1-line block ×5, first 2 shown]
	v_add_f32_e32 v86, v83, v113
	v_sub_f32_e32 v83, v87, v83
	v_fmac_f32_e32 v124, 0x3f4f1bbd, v82
	v_mul_f32_e32 v123, 0xbf167918, v121
	v_fmac_f32_e32 v79, -0.5, v86
	v_sub_f32_e32 v86, v93, v113
	v_mul_f32_e32 v121, 0xbf4f1bbd, v121
	v_add_f32_e32 v93, v115, v120
	v_fmac_f32_e32 v123, 0xbf4f1bbd, v81
	v_fmamk_f32 v112, v84, 0xbf737871, v79
	v_add_f32_e32 v83, v83, v86
	v_fmac_f32_e32 v79, 0x3f737871, v84
	v_fmac_f32_e32 v121, 0x3f167918, v81
	v_add_f32_e32 v95, v116, v124
	v_fmac_f32_e32 v112, 0x3f167918, v80
	v_fmac_f32_e32 v79, 0xbf167918, v80
	v_add_f32_e32 v80, v73, v123
	v_add_f32_e32 v81, v118, v121
	v_fmac_f32_e32 v112, 0x3e9e377a, v83
	v_fmac_f32_e32 v79, 0x3e9e377a, v83
	v_mul_f32_e32 v83, 0xbf167918, v82
	v_sub_f32_e32 v82, v72, v76
	v_mul_f32_e32 v113, 0xbf737871, v112
	v_mul_f32_e32 v112, 0x3e9e377a, v112
	;; [unrolled: 1-line block ×3, first 2 shown]
	v_fmac_f32_e32 v83, 0x3f4f1bbd, v85
	v_fmac_f32_e32 v113, 0x3e9e377a, v117
	v_fmac_f32_e32 v112, 0x3f737871, v117
	v_mul_f32_e32 v117, 0xbe9e377a, v79
	v_fmac_f32_e32 v122, 0xbe9e377a, v78
	v_add_f32_e32 v94, v77, v83
	v_sub_f32_e32 v76, v77, v83
	v_add_f32_e32 v85, v119, v112
	v_fmac_f32_e32 v117, 0x3f737871, v78
	v_add_f32_e32 v86, v74, v122
	v_sub_f32_e32 v72, v74, v122
	v_sub_f32_e32 v74, v73, v123
	;; [unrolled: 1-line block ×3, first 2 shown]
	v_add_f32_e32 v87, v75, v117
	v_sub_f32_e32 v73, v75, v117
	v_sub_f32_e32 v75, v118, v121
	v_add_f32_e32 v84, v114, v113
	v_sub_f32_e32 v78, v114, v113
	v_sub_f32_e32 v77, v116, v124
	;; [unrolled: 1-line block ×3, first 2 shown]
	ds_write_b128 v232, v[108:111]
	ds_write_b128 v232, v[96:99] offset:16
	ds_write_b128 v232, v[88:91] offset:32
	;; [unrolled: 1-line block ×4, first 2 shown]
	ds_write_b128 v229, v[92:95]
	ds_write_b128 v229, v[84:87] offset:16
	ds_write_b128 v229, v[80:83] offset:32
	;; [unrolled: 1-line block ×4, first 2 shown]
	s_waitcnt lgkmcnt(0)
	s_barrier
	buffer_gl0_inv
	ds_read2_b64 v[72:75], v217 offset1:160
	ds_read2_b64 v[80:83], v224 offset0:64 offset1:224
	ds_read2_b64 v[85:88], v228 offset1:160
	ds_read2_b64 v[89:92], v226 offset0:64 offset1:224
	;; [unrolled: 2-line block ×5, first 2 shown]
	s_waitcnt lgkmcnt(0)
	s_barrier
	buffer_gl0_inv
	v_mul_f32_e32 v76, v13, v81
	v_mul_f32_e32 v13, v13, v80
	v_mul_f32_e32 v117, v15, v86
	v_mul_f32_e32 v84, v5, v98
	v_fmac_f32_e32 v76, v12, v80
	v_fma_f32 v12, v12, v81, -v13
	v_mul_f32_e32 v81, v9, v90
	v_mul_f32_e32 v9, v9, v89
	;; [unrolled: 1-line block ×3, first 2 shown]
	v_fmac_f32_e32 v117, v14, v85
	v_mul_f32_e32 v5, v5, v97
	v_fmac_f32_e32 v81, v8, v89
	v_fma_f32 v77, v8, v90, -v9
	v_mul_f32_e32 v89, v11, v94
	v_mul_f32_e32 v8, v11, v93
	v_fma_f32 v118, v14, v86, -v13
	v_mul_f32_e32 v11, v17, v108
	v_fmac_f32_e32 v84, v4, v97
	v_fmac_f32_e32 v89, v10, v93
	v_fma_f32 v90, v10, v94, -v8
	v_mul_f32_e32 v10, v23, v103
	v_mul_f32_e32 v93, v7, v102
	v_fmac_f32_e32 v11, v16, v107
	v_fma_f32 v78, v4, v98, -v5
	v_mul_f32_e32 v4, v7, v101
	v_fma_f32 v13, v22, v104, -v10
	v_mul_f32_e32 v10, v17, v107
	v_fmac_f32_e32 v93, v6, v101
	v_mul_f32_e32 v85, v1, v106
	v_mul_f32_e32 v1, v1, v105
	;; [unrolled: 1-line block ×3, first 2 shown]
	v_fma_f32 v10, v16, v108, -v10
	v_add_f32_e32 v16, v72, v117
	v_fma_f32 v94, v6, v102, -v4
	v_fmac_f32_e32 v85, v0, v105
	v_fma_f32 v79, v0, v106, -v1
	v_fmac_f32_e32 v97, v2, v109
	v_add_f32_e32 v16, v16, v89
	v_mul_f32_e32 v0, v3, v109
	v_mul_f32_e32 v9, v27, v96
	;; [unrolled: 1-line block ×4, first 2 shown]
	v_add_f32_e32 v16, v16, v93
	v_fma_f32 v98, v2, v110, -v0
	v_fmac_f32_e32 v9, v26, v95
	v_fma_f32 v8, v26, v96, -v6
	v_mul_f32_e32 v6, v21, v99
	v_add_f32_e32 v26, v16, v97
	v_add_f32_e32 v16, v89, v93
	v_mul_f32_e32 v15, v23, v104
	v_sub_f32_e32 v17, v90, v94
	v_sub_f32_e32 v23, v97, v93
	v_mul_f32_e32 v0, v173, v113
	v_fma_f32 v21, -0.5, v16, v72
	v_sub_f32_e32 v16, v118, v98
	v_fmac_f32_e32 v15, v22, v103
	v_sub_f32_e32 v22, v117, v89
	v_fma_f32 v80, v172, v114, -v0
	v_mul_f32_e32 v0, v33, v83
	v_fmamk_f32 v27, v16, 0xbf737871, v21
	v_fmac_f32_e32 v21, 0x3f737871, v16
	v_add_f32_e32 v22, v22, v23
	v_mul_f32_e32 v1, v33, v82
	v_fmac_f32_e32 v0, v32, v82
	v_fmac_f32_e32 v27, 0xbf167918, v17
	v_fmac_f32_e32 v21, 0x3f167918, v17
	v_mul_f32_e32 v5, v35, v88
	v_fma_f32 v1, v32, v83, -v1
	v_mul_f32_e32 v2, v35, v87
	v_fmac_f32_e32 v27, 0x3e9e377a, v22
	v_fmac_f32_e32 v21, 0x3e9e377a, v22
	v_add_f32_e32 v22, v117, v97
	v_sub_f32_e32 v23, v93, v97
	v_fmac_f32_e32 v5, v34, v87
	v_mul_f32_e32 v86, v173, v114
	v_fma_f32 v4, v34, v88, -v2
	v_fma_f32 v32, -0.5, v22, v72
	v_sub_f32_e32 v22, v89, v117
	v_mul_f32_e32 v3, v25, v92
	v_fmac_f32_e32 v86, v172, v113
	v_mul_f32_e32 v2, v25, v91
	v_fmamk_f32 v33, v17, 0x3f737871, v32
	v_fmac_f32_e32 v32, 0xbf737871, v17
	v_add_f32_e32 v22, v22, v23
	v_sub_f32_e32 v17, v89, v93
	v_sub_f32_e32 v23, v98, v94
	v_fmac_f32_e32 v33, 0xbf167918, v16
	v_fmac_f32_e32 v32, 0x3f167918, v16
	v_add_f32_e32 v16, v73, v118
	v_fmac_f32_e32 v3, v24, v91
	v_fma_f32 v2, v24, v92, -v2
	v_fmac_f32_e32 v33, 0x3e9e377a, v22
	v_fmac_f32_e32 v32, 0x3e9e377a, v22
	v_add_f32_e32 v16, v16, v90
	v_sub_f32_e32 v22, v118, v90
	v_sub_f32_e32 v24, v81, v84
	;; [unrolled: 1-line block ×4, first 2 shown]
	v_add_f32_e32 v16, v16, v94
	v_add_f32_e32 v22, v22, v23
	v_sub_f32_e32 v23, v94, v98
	v_add_f32_e32 v24, v24, v25
	v_fmac_f32_e32 v7, v20, v99
	v_add_f32_e32 v35, v16, v98
	v_add_f32_e32 v16, v90, v94
	v_fma_f32 v6, v20, v100, -v6
	v_mul_f32_e32 v20, v19, v112
	v_mul_f32_e32 v14, v19, v111
	v_fma_f32 v82, -0.5, v16, v73
	v_sub_f32_e32 v16, v117, v97
	v_fmac_f32_e32 v20, v18, v111
	v_fma_f32 v19, v18, v112, -v14
	v_mul_f32_e32 v14, v177, v115
	v_mul_f32_e32 v18, v177, v116
	v_fmamk_f32 v83, v16, 0x3f737871, v82
	v_fmac_f32_e32 v82, 0xbf737871, v16
	v_fma_f32 v14, v176, v116, -v14
	v_fmac_f32_e32 v18, v176, v115
	v_fmac_f32_e32 v83, 0x3f167918, v17
	;; [unrolled: 1-line block ×5, first 2 shown]
	v_add_f32_e32 v22, v118, v98
	v_fma_f32 v87, -0.5, v22, v73
	v_sub_f32_e32 v22, v90, v118
	v_fmamk_f32 v73, v17, 0xbf737871, v87
	v_fmac_f32_e32 v87, 0x3f737871, v17
	v_add_f32_e32 v22, v22, v23
	v_fmac_f32_e32 v73, 0x3f167918, v16
	v_fmac_f32_e32 v87, 0xbf167918, v16
	v_add_f32_e32 v16, v76, v81
	v_fmac_f32_e32 v73, 0x3e9e377a, v22
	v_fmac_f32_e32 v87, 0x3e9e377a, v22
	v_add_f32_e32 v16, v16, v84
	v_sub_f32_e32 v22, v78, v79
	v_add_f32_e32 v16, v16, v85
	v_add_f32_e32 v34, v16, v86
	;; [unrolled: 1-line block ×3, first 2 shown]
	v_fma_f32 v17, -0.5, v16, v76
	v_sub_f32_e32 v16, v77, v80
	v_fmamk_f32 v23, v16, 0xbf737871, v17
	v_fmac_f32_e32 v17, 0x3f737871, v16
	v_fmac_f32_e32 v23, 0xbf167918, v22
	;; [unrolled: 1-line block ×5, first 2 shown]
	v_add_f32_e32 v24, v81, v86
	v_fmac_f32_e32 v76, -0.5, v24
	v_sub_f32_e32 v24, v84, v81
	v_fmamk_f32 v25, v22, 0x3f737871, v76
	v_fmac_f32_e32 v76, 0xbf737871, v22
	v_add_f32_e32 v24, v24, v72
	v_sub_f32_e32 v22, v84, v85
	v_sub_f32_e32 v84, v80, v79
	v_fmac_f32_e32 v25, 0xbf167918, v16
	v_fmac_f32_e32 v76, 0x3f167918, v16
	v_add_f32_e32 v16, v12, v77
	v_fmac_f32_e32 v25, 0x3e9e377a, v24
	v_fmac_f32_e32 v76, 0x3e9e377a, v24
	v_add_f32_e32 v16, v16, v78
	v_sub_f32_e32 v24, v77, v78
	v_add_f32_e32 v16, v16, v79
	v_add_f32_e32 v24, v24, v84
	;; [unrolled: 1-line block ×4, first 2 shown]
	v_fma_f32 v72, -0.5, v16, v12
	v_sub_f32_e32 v16, v81, v86
	v_fmamk_f32 v81, v16, 0x3f737871, v72
	v_fmac_f32_e32 v72, 0xbf737871, v16
	v_fmac_f32_e32 v81, 0x3f167918, v22
	;; [unrolled: 1-line block ×5, first 2 shown]
	v_add_f32_e32 v24, v77, v80
	v_mul_f32_e32 v90, 0x3f4f1bbd, v81
	v_mul_f32_e32 v91, 0xbf4f1bbd, v72
	v_fmac_f32_e32 v12, -0.5, v24
	v_sub_f32_e32 v24, v78, v77
	v_sub_f32_e32 v77, v79, v80
	v_add_f32_e32 v78, v26, v34
	v_mul_f32_e32 v89, 0xbf167918, v72
	v_fmamk_f32 v84, v22, 0xbf737871, v12
	v_fmac_f32_e32 v12, 0x3f737871, v22
	v_add_f32_e32 v24, v24, v77
	v_mul_f32_e32 v77, 0xbf167918, v81
	v_fmac_f32_e32 v91, 0x3f167918, v17
	v_fmac_f32_e32 v84, 0x3f167918, v16
	v_fmac_f32_e32 v12, 0xbf167918, v16
	v_fmac_f32_e32 v89, 0xbf4f1bbd, v17
	v_fmac_f32_e32 v77, 0x3f4f1bbd, v23
	v_fmac_f32_e32 v90, 0x3f167918, v23
	v_fmac_f32_e32 v84, 0x3e9e377a, v24
	v_fmac_f32_e32 v12, 0x3e9e377a, v24
	v_add_f32_e32 v17, v82, v91
	v_add_f32_e32 v80, v27, v77
	v_add_f32_e32 v79, v35, v88
	v_mul_f32_e32 v85, 0xbf737871, v84
	v_mul_f32_e32 v86, 0xbf737871, v12
	;; [unrolled: 1-line block ×4, first 2 shown]
	v_add_f32_e32 v81, v83, v90
	v_fmac_f32_e32 v85, 0x3e9e377a, v25
	v_fmac_f32_e32 v86, 0xbe9e377a, v76
	v_fmac_f32_e32 v12, 0x3f737871, v76
	v_fmac_f32_e32 v84, 0x3f737871, v25
	v_sub_f32_e32 v76, v26, v34
	v_sub_f32_e32 v34, v27, v77
	v_add_f32_e32 v22, v33, v85
	v_add_f32_e32 v25, v87, v12
	v_sub_f32_e32 v27, v87, v12
	v_add_f32_e32 v12, v74, v5
	v_sub_f32_e32 v72, v33, v85
	v_sub_f32_e32 v33, v82, v91
	;; [unrolled: 1-line block ×4, first 2 shown]
	v_add_f32_e32 v12, v12, v9
	v_add_f32_e32 v24, v32, v86
	;; [unrolled: 1-line block ×4, first 2 shown]
	v_sub_f32_e32 v26, v32, v86
	v_add_f32_e32 v12, v12, v15
	v_sub_f32_e32 v32, v21, v89
	v_sub_f32_e32 v73, v73, v84
	;; [unrolled: 1-line block ×4, first 2 shown]
	v_add_f32_e32 v82, v12, v20
	v_add_f32_e32 v12, v9, v15
	v_sub_f32_e32 v86, v20, v15
	v_sub_f32_e32 v87, v15, v20
	v_fma_f32 v83, -0.5, v12, v74
	v_sub_f32_e32 v12, v4, v19
	v_add_f32_e32 v85, v85, v86
	v_sub_f32_e32 v86, v9, v5
	v_sub_f32_e32 v9, v9, v15
	;; [unrolled: 1-line block ×3, first 2 shown]
	v_fmamk_f32 v84, v12, 0xbf737871, v83
	v_fmac_f32_e32 v83, 0x3f737871, v12
	v_add_f32_e32 v86, v86, v87
	v_fmac_f32_e32 v84, 0xbf167918, v21
	v_fmac_f32_e32 v83, 0x3f167918, v21
	;; [unrolled: 1-line block ×4, first 2 shown]
	v_add_f32_e32 v85, v5, v20
	v_sub_f32_e32 v5, v5, v20
	v_fma_f32 v74, -0.5, v85, v74
	v_fmamk_f32 v85, v21, 0x3f737871, v74
	v_fmac_f32_e32 v74, 0xbf737871, v21
	v_fmac_f32_e32 v85, 0xbf167918, v12
	;; [unrolled: 1-line block ×3, first 2 shown]
	v_add_f32_e32 v12, v75, v4
	v_fmac_f32_e32 v85, 0x3e9e377a, v86
	v_fmac_f32_e32 v74, 0x3e9e377a, v86
	v_add_f32_e32 v12, v12, v8
	v_add_f32_e32 v12, v12, v13
	;; [unrolled: 1-line block ×4, first 2 shown]
	v_fma_f32 v87, -0.5, v12, v75
	v_sub_f32_e32 v12, v4, v8
	v_fmamk_f32 v88, v5, 0x3f737871, v87
	v_fmac_f32_e32 v87, 0xbf737871, v5
	v_add_f32_e32 v12, v12, v15
	v_sub_f32_e32 v15, v18, v11
	v_fmac_f32_e32 v88, 0x3f167918, v9
	v_fmac_f32_e32 v87, 0xbf167918, v9
	;; [unrolled: 1-line block ×4, first 2 shown]
	v_add_f32_e32 v12, v4, v19
	v_sub_f32_e32 v4, v8, v4
	v_sub_f32_e32 v8, v13, v19
	;; [unrolled: 1-line block ×4, first 2 shown]
	v_fmac_f32_e32 v75, -0.5, v12
	v_sub_f32_e32 v12, v6, v10
	v_add_f32_e32 v4, v4, v8
	v_sub_f32_e32 v8, v2, v14
	v_add_f32_e32 v13, v13, v15
	v_fmamk_f32 v89, v9, 0xbf737871, v75
	v_fmac_f32_e32 v75, 0x3f737871, v9
	v_sub_f32_e32 v15, v7, v3
	v_fmac_f32_e32 v89, 0x3f167918, v5
	v_fmac_f32_e32 v75, 0xbf167918, v5
	v_add_f32_e32 v5, v7, v11
	v_add_f32_e32 v15, v15, v19
	v_fmac_f32_e32 v89, 0x3e9e377a, v4
	v_fmac_f32_e32 v75, 0x3e9e377a, v4
	v_fma_f32 v5, -0.5, v5, v0
	v_add_f32_e32 v4, v0, v3
	v_fmamk_f32 v9, v8, 0xbf737871, v5
	v_fmac_f32_e32 v5, 0x3f737871, v8
	v_add_f32_e32 v4, v4, v7
	v_sub_f32_e32 v7, v7, v11
	v_fmac_f32_e32 v9, 0xbf167918, v12
	v_fmac_f32_e32 v5, 0x3f167918, v12
	v_add_f32_e32 v4, v4, v11
	v_sub_f32_e32 v11, v14, v10
	v_fmac_f32_e32 v9, 0x3e9e377a, v13
	v_fmac_f32_e32 v5, 0x3e9e377a, v13
	v_add_f32_e32 v13, v3, v18
	v_sub_f32_e32 v3, v3, v18
	v_add_f32_e32 v4, v4, v18
	v_fmac_f32_e32 v0, -0.5, v13
	v_add_f32_e32 v18, v82, v4
	v_fmamk_f32 v13, v12, 0x3f737871, v0
	v_fmac_f32_e32 v0, 0xbf737871, v12
	v_fmac_f32_e32 v13, 0xbf167918, v8
	;; [unrolled: 1-line block ×3, first 2 shown]
	v_add_f32_e32 v8, v1, v2
	v_fmac_f32_e32 v13, 0x3e9e377a, v15
	v_fmac_f32_e32 v0, 0x3e9e377a, v15
	v_add_f32_e32 v8, v8, v6
	v_add_f32_e32 v8, v8, v10
	;; [unrolled: 1-line block ×5, first 2 shown]
	v_fma_f32 v91, -0.5, v8, v1
	v_sub_f32_e32 v8, v2, v6
	v_fmamk_f32 v15, v3, 0x3f737871, v91
	v_fmac_f32_e32 v91, 0xbf737871, v3
	v_add_f32_e32 v8, v8, v11
	v_fmac_f32_e32 v15, 0x3f167918, v7
	v_fmac_f32_e32 v91, 0xbf167918, v7
	;; [unrolled: 1-line block ×4, first 2 shown]
	v_add_f32_e32 v8, v2, v14
	v_sub_f32_e32 v2, v6, v2
	v_sub_f32_e32 v6, v10, v14
	v_mul_f32_e32 v93, 0x3f4f1bbd, v15
	v_mul_f32_e32 v92, 0xbf167918, v91
	v_fmac_f32_e32 v1, -0.5, v8
	v_mul_f32_e32 v91, 0xbf4f1bbd, v91
	v_add_f32_e32 v2, v2, v6
	v_fmac_f32_e32 v93, 0x3f167918, v9
	v_fmac_f32_e32 v92, 0xbf4f1bbd, v5
	v_fmamk_f32 v11, v7, 0xbf737871, v1
	v_fmac_f32_e32 v1, 0x3f737871, v7
	v_fmac_f32_e32 v91, 0x3f167918, v5
	v_add_f32_e32 v21, v88, v93
	v_add_f32_e32 v8, v83, v92
	v_fmac_f32_e32 v11, 0x3f167918, v3
	v_fmac_f32_e32 v1, 0xbf167918, v3
	v_sub_f32_e32 v10, v82, v4
	v_sub_f32_e32 v5, v88, v93
	v_fmac_f32_e32 v11, 0x3e9e377a, v2
	v_fmac_f32_e32 v1, 0x3e9e377a, v2
	v_mul_f32_e32 v2, 0xbf167918, v15
	v_mul_f32_e32 v3, 0xbf737871, v11
	;; [unrolled: 1-line block ×5, first 2 shown]
	v_fmac_f32_e32 v2, 0x3f4f1bbd, v9
	v_fmac_f32_e32 v3, 0x3e9e377a, v13
	;; [unrolled: 1-line block ×5, first 2 shown]
	v_add_f32_e32 v20, v84, v2
	v_add_f32_e32 v12, v85, v3
	v_add_f32_e32 v14, v74, v7
	v_add_f32_e32 v13, v89, v94
	v_add_f32_e32 v15, v75, v1
	v_add_f32_e32 v9, v87, v91
	v_sub_f32_e32 v4, v84, v2
	v_sub_f32_e32 v6, v85, v3
	;; [unrolled: 1-line block ×8, first 2 shown]
	ds_write2_b64 v230, v[78:79], v[80:81] offset1:10
	ds_write2_b64 v230, v[22:23], v[24:25] offset0:20 offset1:30
	ds_write2_b64 v230, v[16:17], v[76:77] offset0:40 offset1:50
	;; [unrolled: 1-line block ×4, first 2 shown]
	ds_write2_b64 v231, v[18:19], v[20:21] offset1:10
	ds_write2_b64 v231, v[12:13], v[14:15] offset0:20 offset1:30
	ds_write2_b64 v231, v[8:9], v[10:11] offset0:40 offset1:50
	;; [unrolled: 1-line block ×4, first 2 shown]
	s_waitcnt lgkmcnt(0)
	s_barrier
	buffer_gl0_inv
	ds_read2_b64 v[4:7], v217 offset1:160
	ds_read2_b64 v[0:3], v228 offset1:160
	ds_read2_b64 v[8:11], v225 offset0:64 offset1:224
	ds_read2_b64 v[12:15], v222 offset0:64 offset1:224
	;; [unrolled: 1-line block ×3, first 2 shown]
	ds_read2_b64 v[20:23], v221 offset1:160
	ds_read2_b64 v[24:27], v224 offset0:64 offset1:224
	ds_read2_b64 v[32:35], v223 offset1:160
	ds_read2_b64 v[72:75], v227 offset1:160
	ds_read2_b64 v[76:79], v220 offset0:64 offset1:224
	s_waitcnt lgkmcnt(0)
	s_barrier
	buffer_gl0_inv
	v_mul_f32_e32 v80, v29, v3
	v_fmac_f32_e32 v80, v28, v2
	v_mul_f32_e32 v2, v29, v2
	v_mul_f32_e32 v29, v179, v21
	v_fma_f32 v2, v28, v3, -v2
	v_mul_f32_e32 v3, v31, v9
	v_fmac_f32_e32 v29, v178, v20
	v_fmac_f32_e32 v3, v30, v8
	v_mul_f32_e32 v8, v31, v8
	v_mul_f32_e32 v31, v181, v23
	v_fma_f32 v8, v30, v9, -v8
	v_mul_f32_e32 v9, v175, v15
	v_fmac_f32_e32 v31, v180, v22
	v_fmac_f32_e32 v9, v174, v14
	v_mul_f32_e32 v14, v175, v14
	v_sub_f32_e32 v9, v80, v9
	v_fma_f32 v14, v174, v15, -v14
	v_mul_f32_e32 v15, v37, v17
	v_fmac_f32_e32 v15, v36, v16
	v_mul_f32_e32 v16, v37, v16
	v_fma_f32 v16, v36, v17, -v16
	v_mul_f32_e32 v17, v39, v11
	v_mul_f32_e32 v36, v47, v35
	v_fmac_f32_e32 v17, v38, v10
	v_mul_f32_e32 v10, v39, v10
	v_fmac_f32_e32 v36, v46, v34
	v_sub_f32_e32 v17, v6, v17
	v_fma_f32 v28, v38, v11, -v10
	v_mul_f32_e32 v10, v179, v20
	v_sub_f32_e32 v11, v5, v8
	v_sub_f32_e32 v8, v2, v14
	v_mul_f32_e32 v38, v49, v75
	v_sub_f32_e32 v36, v26, v36
	v_fma_f32 v20, v178, v21, -v10
	v_mul_f32_e32 v21, v41, v19
	v_mul_f32_e32 v10, v41, v18
	v_fma_f32 v5, v5, 2.0, -v11
	v_fmac_f32_e32 v38, v48, v74
	v_sub_f32_e32 v14, v16, v20
	v_fmac_f32_e32 v21, v40, v18
	v_fma_f32 v18, v40, v19, -v10
	v_mul_f32_e32 v10, v43, v32
	v_mul_f32_e32 v19, v43, v33
	;; [unrolled: 1-line block ×3, first 2 shown]
	v_fma_f32 v30, v42, v33, -v10
	v_mul_f32_e32 v10, v181, v22
	v_fmac_f32_e32 v19, v42, v32
	v_fmac_f32_e32 v40, v50, v12
	v_mul_f32_e32 v32, v45, v73
	v_mul_f32_e32 v42, v185, v79
	v_fma_f32 v22, v180, v23, -v10
	v_mul_f32_e32 v10, v45, v72
	v_sub_f32_e32 v23, v7, v28
	v_sub_f32_e32 v28, v15, v29
	;; [unrolled: 1-line block ×4, first 2 shown]
	v_fma_f32 v33, v44, v73, -v10
	v_mul_f32_e32 v10, v47, v34
	v_fmac_f32_e32 v32, v44, v72
	v_fmac_f32_e32 v42, v184, v78
	v_sub_f32_e32 v40, v0, v40
	v_fma_f32 v34, v46, v35, -v10
	v_mul_f32_e32 v10, v183, v76
	v_mul_f32_e32 v35, v183, v77
	v_sub_f32_e32 v34, v27, v34
	v_fma_f32 v37, v182, v77, -v10
	v_mul_f32_e32 v10, v49, v74
	v_fmac_f32_e32 v35, v182, v76
	v_sub_f32_e32 v30, v33, v37
	v_fma_f32 v39, v48, v75, -v10
	v_mul_f32_e32 v10, v51, v12
	v_fma_f32 v12, v2, 2.0, -v8
	v_sub_f32_e32 v37, v38, v42
	v_fma_f32 v41, v50, v13, -v10
	v_mul_f32_e32 v10, v185, v78
	v_fma_f32 v13, v7, 2.0, -v23
	v_fma_f32 v7, v16, 2.0, -v14
	v_add_f32_e32 v14, v17, v14
	v_sub_f32_e32 v41, v1, v41
	v_fma_f32 v43, v184, v79, -v10
	v_sub_f32_e32 v10, v4, v3
	v_fma_f32 v3, v80, 2.0, -v9
	v_fma_f32 v16, v17, 2.0, -v14
	v_sub_f32_e32 v9, v11, v9
	v_sub_f32_e32 v7, v13, v7
	v_fma_f32 v4, v4, 2.0, -v10
	v_add_f32_e32 v8, v10, v8
	v_fma_f32 v11, v11, 2.0, -v9
	v_fma_f32 v13, v13, 2.0, -v7
	v_sub_f32_e32 v2, v4, v3
	v_sub_f32_e32 v3, v5, v12
	v_fma_f32 v12, v6, 2.0, -v17
	v_fma_f32 v6, v15, 2.0, -v28
	v_sub_f32_e32 v15, v23, v28
	v_sub_f32_e32 v28, v24, v19
	v_fma_f32 v4, v4, 2.0, -v2
	v_fma_f32 v5, v5, 2.0, -v3
	v_sub_f32_e32 v6, v12, v6
	v_fma_f32 v17, v23, 2.0, -v15
	v_fma_f32 v20, v24, 2.0, -v28
	v_sub_f32_e32 v24, v21, v31
	v_fma_f32 v23, v25, 2.0, -v29
	v_sub_f32_e32 v31, v32, v35
	v_fma_f32 v35, v1, 2.0, -v41
	v_fma_f32 v10, v10, 2.0, -v8
	;; [unrolled: 1-line block ×4, first 2 shown]
	v_add_f32_e32 v22, v28, v22
	v_fma_f32 v12, v12, 2.0, -v6
	v_sub_f32_e32 v18, v20, v19
	v_sub_f32_e32 v19, v23, v21
	v_fma_f32 v20, v20, 2.0, -v18
	v_fma_f32 v21, v23, 2.0, -v19
	v_sub_f32_e32 v23, v29, v24
	v_fma_f32 v24, v28, 2.0, -v22
	v_fma_f32 v28, v26, 2.0, -v36
	;; [unrolled: 1-line block ×3, first 2 shown]
	v_sub_f32_e32 v31, v34, v31
	v_fma_f32 v25, v29, 2.0, -v23
	v_fma_f32 v29, v27, 2.0, -v34
	;; [unrolled: 1-line block ×3, first 2 shown]
	v_add_f32_e32 v30, v36, v30
	v_fma_f32 v33, v34, 2.0, -v31
	v_fma_f32 v34, v0, 2.0, -v40
	v_fma_f32 v0, v38, 2.0, -v37
	v_sub_f32_e32 v26, v28, v26
	v_fma_f32 v32, v36, 2.0, -v30
	v_sub_f32_e32 v36, v39, v43
	v_sub_f32_e32 v27, v29, v27
	;; [unrolled: 1-line block ×4, first 2 shown]
	v_fma_f32 v28, v28, 2.0, -v26
	v_fma_f32 v1, v39, 2.0, -v36
	v_add_f32_e32 v36, v40, v36
	v_fma_f32 v29, v29, 2.0, -v27
	v_fma_f32 v34, v34, 2.0, -v0
	v_fma_f32 v39, v41, 2.0, -v37
	v_sub_f32_e32 v1, v35, v1
	v_fma_f32 v38, v40, 2.0, -v36
	v_fma_f32 v35, v35, 2.0, -v1
	ds_write2_b64 v234, v[4:5], v[10:11] offset1:100
	ds_write2_b64 v237, v[2:3], v[8:9] offset0:72 offset1:172
	ds_write2_b64 v239, v[12:13], v[16:17] offset1:100
	ds_write2_b64 v241, v[6:7], v[14:15] offset0:72 offset1:172
	;; [unrolled: 2-line block ×5, first 2 shown]
	s_waitcnt lgkmcnt(0)
	s_barrier
	buffer_gl0_inv
	ds_read2_b64 v[0:3], v217 offset1:160
	ds_read2_b64 v[4:7], v228 offset1:160
	ds_read2_b64 v[8:11], v225 offset0:64 offset1:224
	ds_read2_b64 v[12:15], v222 offset0:64 offset1:224
	;; [unrolled: 1-line block ×3, first 2 shown]
	ds_read2_b64 v[20:23], v221 offset1:160
	ds_read2_b64 v[24:27], v224 offset0:64 offset1:224
	ds_read2_b64 v[28:31], v223 offset1:160
	ds_read2_b64 v[32:35], v227 offset1:160
	ds_read2_b64 v[36:39], v220 offset0:64 offset1:224
	s_waitcnt lgkmcnt(0)
	s_barrier
	buffer_gl0_inv
	v_mul_f32_e32 v40, v53, v7
	v_mul_f32_e32 v42, v187, v21
	v_fmac_f32_e32 v40, v52, v6
	v_mul_f32_e32 v6, v53, v6
	v_mul_f32_e32 v43, v65, v33
	;; [unrolled: 1-line block ×3, first 2 shown]
	v_fmac_f32_e32 v42, v186, v20
	v_fma_f32 v6, v52, v7, -v6
	v_mul_f32_e32 v7, v55, v9
	v_fmac_f32_e32 v43, v64, v32
	v_fmac_f32_e32 v45, v194, v38
	;; [unrolled: 1-line block ×3, first 2 shown]
	v_mul_f32_e32 v8, v55, v8
	v_fma_f32 v8, v54, v9, -v8
	v_mul_f32_e32 v9, v189, v15
	v_fmac_f32_e32 v9, v188, v14
	v_mul_f32_e32 v14, v189, v14
	v_sub_f32_e32 v9, v40, v9
	v_fma_f32 v14, v188, v15, -v14
	v_mul_f32_e32 v15, v61, v17
	v_fmac_f32_e32 v15, v60, v16
	v_mul_f32_e32 v16, v61, v16
	v_fma_f32 v16, v60, v17, -v16
	v_mul_f32_e32 v17, v63, v11
	v_fmac_f32_e32 v17, v62, v10
	v_mul_f32_e32 v10, v63, v10
	v_sub_f32_e32 v17, v2, v17
	v_fma_f32 v41, v62, v11, -v10
	v_mul_f32_e32 v10, v187, v20
	v_sub_f32_e32 v11, v1, v8
	v_fma_f32 v20, v186, v21, -v10
	v_mul_f32_e32 v21, v57, v19
	v_mul_f32_e32 v10, v57, v18
	v_fma_f32 v8, v1, 2.0, -v11
	v_fmac_f32_e32 v21, v56, v18
	v_fma_f32 v18, v56, v19, -v10
	v_mul_f32_e32 v19, v59, v29
	v_mul_f32_e32 v10, v59, v28
	v_fmac_f32_e32 v19, v58, v28
	v_fma_f32 v28, v58, v29, -v10
	v_mul_f32_e32 v29, v191, v23
	v_mul_f32_e32 v10, v191, v22
	v_sub_f32_e32 v28, v25, v28
	v_fmac_f32_e32 v29, v190, v22
	v_fma_f32 v22, v190, v23, -v10
	v_mul_f32_e32 v10, v65, v32
	v_sub_f32_e32 v23, v3, v41
	v_sub_f32_e32 v22, v18, v22
	v_fma_f32 v32, v64, v33, -v10
	v_mul_f32_e32 v33, v67, v31
	v_mul_f32_e32 v10, v67, v30
	v_fmac_f32_e32 v33, v66, v30
	v_fma_f32 v30, v66, v31, -v10
	v_mul_f32_e32 v31, v193, v37
	v_mul_f32_e32 v10, v193, v36
	v_sub_f32_e32 v33, v26, v33
	v_fmac_f32_e32 v31, v192, v36
	v_fma_f32 v36, v192, v37, -v10
	v_mul_f32_e32 v37, v69, v35
	v_mul_f32_e32 v10, v69, v34
	v_sub_f32_e32 v31, v43, v31
	;; [unrolled: 5-line block ×3, first 2 shown]
	v_fma_f32 v44, v70, v13, -v10
	v_mul_f32_e32 v10, v195, v38
	v_fmac_f32_e32 v35, v70, v12
	v_sub_f32_e32 v12, v6, v14
	v_sub_f32_e32 v14, v16, v20
	v_fma_f32 v13, v3, 2.0, -v23
	v_fma_f32 v38, v194, v39, -v10
	v_sub_f32_e32 v10, v0, v7
	v_fma_f32 v1, v6, 2.0, -v12
	v_sub_f32_e32 v39, v15, v42
	v_fma_f32 v3, v16, 2.0, -v14
	v_add_f32_e32 v14, v17, v14
	v_fma_f32 v7, v0, 2.0, -v10
	v_fma_f32 v0, v40, 2.0, -v9
	v_sub_f32_e32 v1, v8, v1
	v_sub_f32_e32 v40, v5, v44
	v_fma_f32 v16, v17, 2.0, -v14
	v_sub_f32_e32 v38, v34, v38
	v_sub_f32_e32 v0, v7, v0
	;; [unrolled: 1-line block ×4, first 2 shown]
	v_fma_f32 v6, v7, 2.0, -v0
	v_fma_f32 v7, v8, 2.0, -v1
	v_add_f32_e32 v8, v10, v12
	v_fma_f32 v12, v2, 2.0, -v17
	v_fma_f32 v2, v15, 2.0, -v39
	v_sub_f32_e32 v15, v23, v39
	v_sub_f32_e32 v39, v24, v19
	v_fma_f32 v10, v10, 2.0, -v8
	v_fma_f32 v11, v11, 2.0, -v9
	v_sub_f32_e32 v2, v12, v2
	v_fma_f32 v17, v23, 2.0, -v15
	v_fma_f32 v20, v24, 2.0, -v39
	;; [unrolled: 3-line block ×3, first 2 shown]
	v_fma_f32 v13, v13, 2.0, -v3
	v_fma_f32 v19, v21, 2.0, -v24
	;; [unrolled: 1-line block ×3, first 2 shown]
	v_add_f32_e32 v22, v39, v22
	v_sub_f32_e32 v18, v20, v19
	v_sub_f32_e32 v19, v23, v21
	v_fma_f32 v20, v20, 2.0, -v18
	v_fma_f32 v21, v23, 2.0, -v19
	v_sub_f32_e32 v23, v28, v24
	v_fma_f32 v24, v39, 2.0, -v22
	v_sub_f32_e32 v39, v27, v30
	v_sub_f32_e32 v30, v32, v36
	v_fma_f32 v36, v5, 2.0, -v40
	v_fma_f32 v25, v28, 2.0, -v23
	;; [unrolled: 1-line block ×6, first 2 shown]
	v_add_f32_e32 v30, v33, v30
	v_sub_f32_e32 v31, v39, v31
	v_fma_f32 v5, v34, 2.0, -v38
	v_sub_f32_e32 v26, v28, v26
	v_sub_f32_e32 v27, v29, v27
	v_fma_f32 v32, v33, 2.0, -v30
	v_fma_f32 v33, v39, 2.0, -v31
	v_sub_f32_e32 v39, v4, v35
	v_sub_f32_e32 v5, v36, v5
	v_fma_f32 v28, v28, 2.0, -v26
	v_fma_f32 v29, v29, 2.0, -v27
	;; [unrolled: 1-line block ×4, first 2 shown]
	v_sub_f32_e32 v37, v40, v41
	v_sub_f32_e32 v4, v35, v4
	v_fma_f32 v34, v35, 2.0, -v4
	v_fma_f32 v35, v36, 2.0, -v5
	v_add_f32_e32 v36, v39, v38
	v_fma_f32 v38, v39, 2.0, -v36
	v_fma_f32 v39, v40, 2.0, -v37
	ds_write_b64 v217, v[10:11] offset:3200
	ds_write_b64 v217, v[0:1] offset:6400
	;; [unrolled: 1-line block ×3, first 2 shown]
	ds_write2_b64 v217, v[6:7], v[12:13] offset1:160
	ds_write_b64 v217, v[16:17] offset:4480
	ds_write_b64 v217, v[2:3] offset:7680
	;; [unrolled: 1-line block ×3, first 2 shown]
	ds_write_b64 v244, v[20:21]
	ds_write_b64 v244, v[24:25] offset:3200
	ds_write_b64 v244, v[18:19] offset:6400
	ds_write_b64 v244, v[22:23] offset:9600
	ds_write2_b64 v245, v[28:29], v[34:35] offset0:16 offset1:176
	ds_write2_b64 v233, v[32:33], v[38:39] offset0:32 offset1:192
	;; [unrolled: 1-line block ×4, first 2 shown]
	s_waitcnt lgkmcnt(0)
	s_barrier
	buffer_gl0_inv
	ds_read2_b64 v[0:3], v217 offset1:160
	ds_read2_b64 v[4:7], v225 offset0:64 offset1:224
	ds_read2_b64 v[8:11], v224 offset0:64 offset1:224
	ds_read2_b64 v[12:15], v223 offset1:160
	ds_read2_b64 v[16:19], v228 offset1:160
	ds_read2_b64 v[20:23], v222 offset0:64 offset1:224
	ds_read2_b64 v[24:27], v226 offset0:64 offset1:224
	ds_read2_b64 v[28:31], v221 offset1:160
	ds_read2_b64 v[32:35], v227 offset1:160
	ds_read2_b64 v[36:39], v220 offset0:64 offset1:224
	s_waitcnt lgkmcnt(8)
	v_mul_f32_e32 v40, v197, v5
	v_mul_f32_e32 v41, v199, v7
	s_waitcnt lgkmcnt(6)
	v_mul_f32_e32 v42, v201, v13
	v_mul_f32_e32 v43, v203, v15
	s_waitcnt lgkmcnt(4)
	v_mul_f32_e32 v44, v205, v21
	v_fmac_f32_e32 v40, v196, v4
	v_mul_f32_e32 v4, v197, v4
	v_mul_f32_e32 v45, v207, v23
	s_waitcnt lgkmcnt(2)
	v_mul_f32_e32 v46, v209, v29
	v_mul_f32_e32 v47, v211, v31
	s_waitcnt lgkmcnt(0)
	v_mul_f32_e32 v48, v213, v37
	v_fma_f32 v5, v196, v5, -v4
	v_mul_f32_e32 v4, v199, v6
	v_mul_f32_e32 v49, v215, v39
	v_fmac_f32_e32 v41, v198, v6
	v_fmac_f32_e32 v42, v200, v12
	;; [unrolled: 1-line block ×3, first 2 shown]
	v_fma_f32 v7, v198, v7, -v4
	v_mul_f32_e32 v4, v201, v12
	v_fmac_f32_e32 v45, v206, v22
	v_fmac_f32_e32 v44, v204, v20
	;; [unrolled: 1-line block ×4, first 2 shown]
	v_fma_f32 v13, v200, v13, -v4
	v_mul_f32_e32 v4, v203, v14
	v_fmac_f32_e32 v48, v212, v36
	v_fmac_f32_e32 v49, v214, v38
	v_sub_f32_e32 v5, v1, v5
	v_sub_f32_e32 v6, v2, v41
	v_fma_f32 v15, v202, v15, -v4
	v_mul_f32_e32 v4, v205, v20
	v_sub_f32_e32 v7, v3, v7
	v_sub_f32_e32 v12, v8, v42
	;; [unrolled: 1-line block ×4, first 2 shown]
	v_fma_f32 v21, v204, v21, -v4
	v_mul_f32_e32 v4, v207, v22
	v_sub_f32_e32 v15, v11, v15
	v_sub_f32_e32 v22, v18, v45
	;; [unrolled: 1-line block ×4, first 2 shown]
	v_fma_f32 v23, v206, v23, -v4
	v_mul_f32_e32 v4, v209, v28
	v_sub_f32_e32 v28, v24, v46
	v_fma_f32 v1, v1, 2.0, -v5
	v_fma_f32 v2, v2, 2.0, -v6
	v_sub_f32_e32 v23, v19, v23
	v_fma_f32 v29, v208, v29, -v4
	v_mul_f32_e32 v4, v211, v30
	v_sub_f32_e32 v30, v26, v47
	v_fma_f32 v3, v3, 2.0, -v7
	v_fma_f32 v8, v8, 2.0, -v12
	v_sub_f32_e32 v29, v25, v29
	;; [unrolled: 6-line block ×4, first 2 shown]
	v_fma_f32 v39, v214, v39, -v4
	v_sub_f32_e32 v4, v0, v40
	v_fma_f32 v19, v19, 2.0, -v23
	v_fma_f32 v16, v16, 2.0, -v20
	;; [unrolled: 1-line block ×3, first 2 shown]
	v_sub_f32_e32 v39, v35, v39
	v_fma_f32 v0, v0, 2.0, -v4
	v_fma_f32 v24, v24, 2.0, -v28
	;; [unrolled: 1-line block ×9, first 2 shown]
	ds_write_b64 v217, v[4:5] offset:12800
	ds_write2_b64 v217, v[0:1], v[2:3] offset1:160
	ds_write2_b64 v249, v[6:7], v[12:13] offset0:32 offset1:192
	ds_write2_b64 v224, v[8:9], v[10:11] offset0:64 offset1:224
	;; [unrolled: 1-line block ×3, first 2 shown]
	ds_write2_b64 v228, v[16:17], v[18:19] offset1:160
	ds_write2_b64 v248, v[22:23], v[28:29] offset0:32 offset1:192
	ds_write2_b64 v226, v[24:25], v[26:27] offset0:64 offset1:224
	;; [unrolled: 1-line block ×3, first 2 shown]
	ds_write2_b64 v227, v[32:33], v[34:35] offset1:160
	ds_write_b64 v217, v[38:39] offset:24320
	s_waitcnt lgkmcnt(0)
	s_barrier
	buffer_gl0_inv
	ds_read2_b64 v[18:21], v217 offset1:160
	s_waitcnt lgkmcnt(0)
	v_mul_f32_e32 v0, v159, v19
	v_fmac_f32_e32 v0, v158, v18
	v_cvt_f64_f32_e32 v[0:1], v0
	v_mul_f64 v[0:1], v[0:1], s[2:3]
	v_cvt_f32_f64_e32 v0, v[0:1]
	v_mul_f32_e32 v1, v159, v18
	v_fma_f32 v1, v158, v19, -v1
	ds_read2_b64 v[16:19], v224 offset0:64 offset1:224
	v_cvt_f64_f32_e32 v[1:2], v1
	v_mul_f64 v[1:2], v[1:2], s[2:3]
	v_cvt_f32_f64_e32 v1, v[1:2]
	v_mad_u64_u32 v[2:3], null, s0, v216, 0
	v_mad_u64_u32 v[3:4], null, s1, v216, v[3:4]
	v_lshlrev_b64 v[4:5], 3, v[146:147]
	v_lshlrev_b64 v[2:3], 3, v[2:3]
	v_add_co_u32 v26, vcc_lo, s12, v4
	v_add_co_ci_u32_e32 v27, vcc_lo, s13, v5, vcc_lo
	v_add_co_u32 v2, vcc_lo, v26, v2
	v_add_co_ci_u32_e32 v3, vcc_lo, v27, v3, vcc_lo
	global_store_dwordx2 v[2:3], v[0:1], off
	s_waitcnt lgkmcnt(0)
	v_mul_f32_e32 v0, v157, v17
	v_add_co_u32 v2, vcc_lo, v2, s5
	v_add_co_ci_u32_e32 v3, vcc_lo, s4, v3, vcc_lo
	v_fmac_f32_e32 v0, v156, v16
	v_cvt_f64_f32_e32 v[0:1], v0
	v_mul_f64 v[0:1], v[0:1], s[2:3]
	v_cvt_f32_f64_e32 v0, v[0:1]
	v_mul_f32_e32 v1, v157, v16
	v_fma_f32 v1, v156, v17, -v1
	ds_read2_b64 v[14:17], v228 offset1:160
	v_cvt_f64_f32_e32 v[4:5], v1
	v_mul_f64 v[4:5], v[4:5], s[2:3]
	v_cvt_f32_f64_e32 v1, v[4:5]
	global_store_dwordx2 v[2:3], v[0:1], off
	s_waitcnt lgkmcnt(0)
	v_mul_f32_e32 v0, v155, v15
	v_add_co_u32 v2, vcc_lo, v2, s5
	v_add_co_ci_u32_e32 v3, vcc_lo, s4, v3, vcc_lo
	v_fmac_f32_e32 v0, v154, v14
	v_cvt_f64_f32_e32 v[0:1], v0
	v_mul_f64 v[0:1], v[0:1], s[2:3]
	v_cvt_f32_f64_e32 v0, v[0:1]
	v_mul_f32_e32 v1, v155, v14
	v_fma_f32 v1, v154, v15, -v1
	ds_read2_b64 v[12:15], v226 offset0:64 offset1:224
	v_cvt_f64_f32_e32 v[4:5], v1
	v_mul_f64 v[4:5], v[4:5], s[2:3]
	v_cvt_f32_f64_e32 v1, v[4:5]
	global_store_dwordx2 v[2:3], v[0:1], off
	s_waitcnt lgkmcnt(0)
	v_mul_f32_e32 v0, v153, v13
	v_add_co_u32 v2, vcc_lo, v2, s5
	v_add_co_ci_u32_e32 v3, vcc_lo, s4, v3, vcc_lo
	v_fmac_f32_e32 v0, v152, v12
	v_cvt_f64_f32_e32 v[0:1], v0
	v_mul_f64 v[0:1], v[0:1], s[2:3]
	v_cvt_f32_f64_e32 v0, v[0:1]
	v_mul_f32_e32 v1, v153, v12
	v_fma_f32 v1, v152, v13, -v1
	ds_read2_b64 v[10:13], v227 offset1:160
	v_cvt_f64_f32_e32 v[4:5], v1
	v_mul_f64 v[4:5], v[4:5], s[2:3]
	v_cvt_f32_f64_e32 v1, v[4:5]
	global_store_dwordx2 v[2:3], v[0:1], off
	s_waitcnt lgkmcnt(0)
	v_mul_f32_e32 v0, v167, v11
	v_mad_u64_u32 v[2:3], null, 0x1400, s0, v[2:3]
	v_fmac_f32_e32 v0, v166, v10
	v_add_nc_u32_e32 v3, s6, v3
	v_cvt_f64_f32_e32 v[0:1], v0
	v_mul_f64 v[0:1], v[0:1], s[2:3]
	v_cvt_f32_f64_e32 v0, v[0:1]
	v_mul_f32_e32 v1, v167, v10
	v_fma_f32 v1, v166, v11, -v1
	ds_read2_b64 v[8:11], v225 offset0:64 offset1:224
	v_cvt_f64_f32_e32 v[4:5], v1
	v_mul_f64 v[4:5], v[4:5], s[2:3]
	v_cvt_f32_f64_e32 v1, v[4:5]
	v_mad_u64_u32 v[4:5], null, s0, v218, 0
	v_mad_u64_u32 v[5:6], null, s1, v218, v[5:6]
	v_lshlrev_b64 v[4:5], 3, v[4:5]
	v_add_co_u32 v4, vcc_lo, v26, v4
	v_add_co_ci_u32_e32 v5, vcc_lo, v27, v5, vcc_lo
	global_store_dwordx2 v[4:5], v[0:1], off
	s_waitcnt lgkmcnt(0)
	v_mul_f32_e32 v0, v165, v9
	v_fmac_f32_e32 v0, v164, v8
	v_cvt_f64_f32_e32 v[0:1], v0
	v_mul_f64 v[0:1], v[0:1], s[2:3]
	v_cvt_f32_f64_e32 v0, v[0:1]
	v_mul_f32_e32 v1, v165, v8
	v_fma_f32 v1, v164, v9, -v1
	ds_read2_b64 v[6:9], v223 offset1:160
	v_cvt_f64_f32_e32 v[4:5], v1
	v_mul_f64 v[4:5], v[4:5], s[2:3]
	v_cvt_f32_f64_e32 v1, v[4:5]
	global_store_dwordx2 v[2:3], v[0:1], off
	s_waitcnt lgkmcnt(0)
	v_mul_f32_e32 v0, v163, v7
	v_add_co_u32 v2, vcc_lo, v2, s5
	v_add_co_ci_u32_e32 v3, vcc_lo, s4, v3, vcc_lo
	v_fmac_f32_e32 v0, v162, v6
	v_add_co_u32 v22, vcc_lo, v2, s5
	v_add_co_ci_u32_e32 v23, vcc_lo, s4, v3, vcc_lo
	v_cvt_f64_f32_e32 v[0:1], v0
	v_mul_f64 v[0:1], v[0:1], s[2:3]
	v_cvt_f32_f64_e32 v0, v[0:1]
	v_mul_f32_e32 v1, v163, v6
	v_fma_f32 v1, v162, v7, -v1
	v_cvt_f64_f32_e32 v[4:5], v1
	v_mul_f64 v[4:5], v[4:5], s[2:3]
	v_cvt_f32_f64_e32 v1, v[4:5]
	ds_read2_b64 v[4:7], v222 offset0:64 offset1:224
	global_store_dwordx2 v[2:3], v[0:1], off
	s_waitcnt lgkmcnt(0)
	v_mul_f32_e32 v0, v161, v5
	v_fmac_f32_e32 v0, v160, v4
	v_cvt_f64_f32_e32 v[0:1], v0
	v_mul_f64 v[0:1], v[0:1], s[2:3]
	v_cvt_f32_f64_e32 v0, v[0:1]
	v_mul_f32_e32 v1, v161, v4
	v_fma_f32 v1, v160, v5, -v1
	v_cvt_f64_f32_e32 v[4:5], v1
	v_mul_f64 v[4:5], v[4:5], s[2:3]
	v_cvt_f32_f64_e32 v1, v[4:5]
	ds_read2_b64 v[2:5], v221 offset1:160
	global_store_dwordx2 v[22:23], v[0:1], off
	s_waitcnt lgkmcnt(0)
	v_mul_f32_e32 v0, v171, v3
	v_fmac_f32_e32 v0, v170, v2
	v_cvt_f64_f32_e32 v[0:1], v0
	v_mul_f64 v[0:1], v[0:1], s[2:3]
	v_cvt_f32_f64_e32 v0, v[0:1]
	v_mul_f32_e32 v1, v171, v2
	v_fma_f32 v1, v170, v3, -v1
	v_cvt_f64_f32_e32 v[1:2], v1
	v_mul_f64 v[1:2], v[1:2], s[2:3]
	v_cvt_f32_f64_e32 v1, v[1:2]
	v_mad_u64_u32 v[2:3], null, s0, v219, 0
	v_mad_u64_u32 v[24:25], null, s1, v219, v[3:4]
	s_mulk_i32 s1, 0xab00
	v_mov_b32_e32 v3, v24
	v_lshlrev_b64 v[2:3], 3, v[2:3]
	v_add_co_u32 v2, vcc_lo, v26, v2
	v_add_co_ci_u32_e32 v3, vcc_lo, v27, v3, vcc_lo
	global_store_dwordx2 v[2:3], v[0:1], off
	ds_read2_b64 v[0:3], v220 offset0:64 offset1:224
	s_waitcnt lgkmcnt(0)
	v_mul_f32_e32 v24, v169, v1
	v_fmac_f32_e32 v24, v168, v0
	v_mul_f32_e32 v0, v169, v0
	v_cvt_f64_f32_e32 v[24:25], v24
	v_fma_f32 v0, v168, v1, -v0
	v_cvt_f64_f32_e32 v[0:1], v0
	v_mul_f64 v[24:25], v[24:25], s[2:3]
	v_mul_f64 v[0:1], v[0:1], s[2:3]
	v_cvt_f32_f64_e32 v24, v[24:25]
	v_cvt_f32_f64_e32 v25, v[0:1]
	v_mad_u64_u32 v[0:1], null, 0x1400, s0, v[22:23]
	v_mul_f32_e32 v22, v149, v21
	v_fmac_f32_e32 v22, v148, v20
	v_mul_f32_e32 v20, v149, v20
	v_add_nc_u32_e32 v1, s6, v1
	v_cvt_f64_f32_e32 v[22:23], v22
	v_fma_f32 v20, v148, v21, -v20
	v_cvt_f64_f32_e32 v[20:21], v20
	global_store_dwordx2 v[0:1], v[24:25], off
	v_mad_u64_u32 v[0:1], null, 0xffffab00, s0, v[0:1]
	s_sub_i32 s0, s1, s0
	v_add_nc_u32_e32 v1, s0, v1
	v_mul_f64 v[22:23], v[22:23], s[2:3]
	v_mul_f64 v[20:21], v[20:21], s[2:3]
	v_cvt_f32_f64_e32 v22, v[22:23]
	v_cvt_f32_f64_e32 v23, v[20:21]
	v_mul_f32_e32 v20, v151, v19
	v_fmac_f32_e32 v20, v150, v18
	v_mul_f32_e32 v18, v151, v18
	v_cvt_f64_f32_e32 v[20:21], v20
	v_fma_f32 v18, v150, v19, -v18
	v_cvt_f64_f32_e32 v[18:19], v18
	global_store_dwordx2 v[0:1], v[22:23], off
	v_add_co_u32 v0, vcc_lo, v0, s5
	v_add_co_ci_u32_e32 v1, vcc_lo, s4, v1, vcc_lo
	v_mul_f64 v[20:21], v[20:21], s[2:3]
	v_mul_f64 v[18:19], v[18:19], s[2:3]
	v_cvt_f32_f64_e32 v20, v[20:21]
	v_cvt_f32_f64_e32 v21, v[18:19]
	v_mul_f32_e32 v18, v145, v17
	v_fmac_f32_e32 v18, v144, v16
	v_mul_f32_e32 v16, v145, v16
	v_cvt_f64_f32_e32 v[18:19], v18
	v_fma_f32 v16, v144, v17, -v16
	v_cvt_f64_f32_e32 v[16:17], v16
	global_store_dwordx2 v[0:1], v[20:21], off
	v_add_co_u32 v0, vcc_lo, v0, s5
	v_add_co_ci_u32_e32 v1, vcc_lo, s4, v1, vcc_lo
	;; [unrolled: 13-line block ×9, first 2 shown]
	v_mul_f64 v[4:5], v[4:5], s[2:3]
	v_mul_f64 v[2:3], v[2:3], s[2:3]
	v_cvt_f32_f64_e32 v4, v[4:5]
	v_cvt_f32_f64_e32 v5, v[2:3]
	global_store_dwordx2 v[0:1], v[4:5], off
.LBB0_2:
	s_endpgm
	.section	.rodata,"a",@progbits
	.p2align	6, 0x0
	.amdhsa_kernel bluestein_single_fwd_len3200_dim1_sp_op_CI_CI
		.amdhsa_group_segment_fixed_size 25600
		.amdhsa_private_segment_fixed_size 0
		.amdhsa_kernarg_size 104
		.amdhsa_user_sgpr_count 6
		.amdhsa_user_sgpr_private_segment_buffer 1
		.amdhsa_user_sgpr_dispatch_ptr 0
		.amdhsa_user_sgpr_queue_ptr 0
		.amdhsa_user_sgpr_kernarg_segment_ptr 1
		.amdhsa_user_sgpr_dispatch_id 0
		.amdhsa_user_sgpr_flat_scratch_init 0
		.amdhsa_user_sgpr_private_segment_size 0
		.amdhsa_wavefront_size32 1
		.amdhsa_uses_dynamic_stack 0
		.amdhsa_system_sgpr_private_segment_wavefront_offset 0
		.amdhsa_system_sgpr_workgroup_id_x 1
		.amdhsa_system_sgpr_workgroup_id_y 0
		.amdhsa_system_sgpr_workgroup_id_z 0
		.amdhsa_system_sgpr_workgroup_info 0
		.amdhsa_system_vgpr_workitem_id 0
		.amdhsa_next_free_vgpr 251
		.amdhsa_next_free_sgpr 20
		.amdhsa_reserve_vcc 1
		.amdhsa_reserve_flat_scratch 0
		.amdhsa_float_round_mode_32 0
		.amdhsa_float_round_mode_16_64 0
		.amdhsa_float_denorm_mode_32 3
		.amdhsa_float_denorm_mode_16_64 3
		.amdhsa_dx10_clamp 1
		.amdhsa_ieee_mode 1
		.amdhsa_fp16_overflow 0
		.amdhsa_workgroup_processor_mode 1
		.amdhsa_memory_ordered 1
		.amdhsa_forward_progress 0
		.amdhsa_shared_vgpr_count 0
		.amdhsa_exception_fp_ieee_invalid_op 0
		.amdhsa_exception_fp_denorm_src 0
		.amdhsa_exception_fp_ieee_div_zero 0
		.amdhsa_exception_fp_ieee_overflow 0
		.amdhsa_exception_fp_ieee_underflow 0
		.amdhsa_exception_fp_ieee_inexact 0
		.amdhsa_exception_int_div_zero 0
	.end_amdhsa_kernel
	.text
.Lfunc_end0:
	.size	bluestein_single_fwd_len3200_dim1_sp_op_CI_CI, .Lfunc_end0-bluestein_single_fwd_len3200_dim1_sp_op_CI_CI
                                        ; -- End function
	.section	.AMDGPU.csdata,"",@progbits
; Kernel info:
; codeLenInByte = 20000
; NumSgprs: 22
; NumVgprs: 251
; ScratchSize: 0
; MemoryBound: 0
; FloatMode: 240
; IeeeMode: 1
; LDSByteSize: 25600 bytes/workgroup (compile time only)
; SGPRBlocks: 2
; VGPRBlocks: 31
; NumSGPRsForWavesPerEU: 22
; NumVGPRsForWavesPerEU: 251
; Occupancy: 4
; WaveLimiterHint : 1
; COMPUTE_PGM_RSRC2:SCRATCH_EN: 0
; COMPUTE_PGM_RSRC2:USER_SGPR: 6
; COMPUTE_PGM_RSRC2:TRAP_HANDLER: 0
; COMPUTE_PGM_RSRC2:TGID_X_EN: 1
; COMPUTE_PGM_RSRC2:TGID_Y_EN: 0
; COMPUTE_PGM_RSRC2:TGID_Z_EN: 0
; COMPUTE_PGM_RSRC2:TIDIG_COMP_CNT: 0
	.text
	.p2alignl 6, 3214868480
	.fill 48, 4, 3214868480
	.type	__hip_cuid_54cafccdeb06a298,@object ; @__hip_cuid_54cafccdeb06a298
	.section	.bss,"aw",@nobits
	.globl	__hip_cuid_54cafccdeb06a298
__hip_cuid_54cafccdeb06a298:
	.byte	0                               ; 0x0
	.size	__hip_cuid_54cafccdeb06a298, 1

	.ident	"AMD clang version 19.0.0git (https://github.com/RadeonOpenCompute/llvm-project roc-6.4.0 25133 c7fe45cf4b819c5991fe208aaa96edf142730f1d)"
	.section	".note.GNU-stack","",@progbits
	.addrsig
	.addrsig_sym __hip_cuid_54cafccdeb06a298
	.amdgpu_metadata
---
amdhsa.kernels:
  - .args:
      - .actual_access:  read_only
        .address_space:  global
        .offset:         0
        .size:           8
        .value_kind:     global_buffer
      - .actual_access:  read_only
        .address_space:  global
        .offset:         8
        .size:           8
        .value_kind:     global_buffer
      - .actual_access:  read_only
        .address_space:  global
        .offset:         16
        .size:           8
        .value_kind:     global_buffer
      - .actual_access:  read_only
        .address_space:  global
        .offset:         24
        .size:           8
        .value_kind:     global_buffer
      - .actual_access:  read_only
        .address_space:  global
        .offset:         32
        .size:           8
        .value_kind:     global_buffer
      - .offset:         40
        .size:           8
        .value_kind:     by_value
      - .address_space:  global
        .offset:         48
        .size:           8
        .value_kind:     global_buffer
      - .address_space:  global
        .offset:         56
        .size:           8
        .value_kind:     global_buffer
      - .address_space:  global
        .offset:         64
        .size:           8
        .value_kind:     global_buffer
      - .address_space:  global
        .offset:         72
        .size:           8
        .value_kind:     global_buffer
      - .offset:         80
        .size:           4
        .value_kind:     by_value
      - .address_space:  global
        .offset:         88
        .size:           8
        .value_kind:     global_buffer
      - .address_space:  global
        .offset:         96
        .size:           8
        .value_kind:     global_buffer
    .group_segment_fixed_size: 25600
    .kernarg_segment_align: 8
    .kernarg_segment_size: 104
    .language:       OpenCL C
    .language_version:
      - 2
      - 0
    .max_flat_workgroup_size: 160
    .name:           bluestein_single_fwd_len3200_dim1_sp_op_CI_CI
    .private_segment_fixed_size: 0
    .sgpr_count:     22
    .sgpr_spill_count: 0
    .symbol:         bluestein_single_fwd_len3200_dim1_sp_op_CI_CI.kd
    .uniform_work_group_size: 1
    .uses_dynamic_stack: false
    .vgpr_count:     251
    .vgpr_spill_count: 0
    .wavefront_size: 32
    .workgroup_processor_mode: 1
amdhsa.target:   amdgcn-amd-amdhsa--gfx1030
amdhsa.version:
  - 1
  - 2
...

	.end_amdgpu_metadata
